;; amdgpu-corpus repo=vllm-project/vllm kind=compiled arch=gfx1100 opt=O3
	.text
	.amdgcn_target "amdgcn-amd-amdhsa--gfx1100"
	.amdhsa_code_object_version 6
	.p2align	2                               ; -- Begin function __ockl_fprintf_append_string_n
	.type	__ockl_fprintf_append_string_n,@function
__ockl_fprintf_append_string_n:         ; @__ockl_fprintf_append_string_n
; %bb.0:
	s_waitcnt vmcnt(0) expcnt(0) lgkmcnt(0)
	v_dual_mov_b32 v8, v3 :: v_dual_mov_b32 v7, v2
	v_or_b32_e32 v2, 2, v0
	v_cmp_eq_u32_e32 vcc_lo, 0, v6
	v_mbcnt_lo_u32_b32 v33, -1, 0
	s_mov_b32 s11, 0
	s_mov_b32 s0, exec_lo
	v_cndmask_b32_e32 v0, v2, v0, vcc_lo
	v_cmpx_ne_u64_e32 0, v[7:8]
	s_xor_b32 s10, exec_lo, s0
	s_cbranch_execz .LBB0_86
; %bb.1:
	s_load_b64 s[2:3], s[8:9], 0x50
	v_dual_mov_b32 v11, 2 :: v_dual_and_b32 v6, 2, v0
	v_mov_b32_e32 v10, 0
	v_and_b32_e32 v0, -3, v0
	v_mov_b32_e32 v12, 1
	s_mov_b32 s12, 0
	s_branch .LBB0_3
.LBB0_2:                                ;   in Loop: Header=BB0_3 Depth=1
	s_or_b32 exec_lo, exec_lo, s1
	v_sub_co_u32 v4, vcc_lo, v4, v29
	v_sub_co_ci_u32_e32 v5, vcc_lo, v5, v30, vcc_lo
	v_add_co_u32 v7, s0, v7, v29
	s_delay_alu instid0(VALU_DEP_1) | instskip(NEXT) | instid1(VALU_DEP_3)
	v_add_co_ci_u32_e64 v8, s0, v8, v30, s0
	v_cmp_eq_u64_e32 vcc_lo, 0, v[4:5]
	s_or_b32 s12, vcc_lo, s12
	s_delay_alu instid0(SALU_CYCLE_1)
	s_and_not1_b32 exec_lo, exec_lo, s12
	s_cbranch_execz .LBB0_85
.LBB0_3:                                ; =>This Loop Header: Depth=1
                                        ;     Child Loop BB0_6 Depth 2
                                        ;     Child Loop BB0_14 Depth 2
	;; [unrolled: 1-line block ×11, first 2 shown]
	v_cmp_gt_u64_e32 vcc_lo, 56, v[4:5]
	s_mov_b32 s1, exec_lo
                                        ; implicit-def: $vgpr2_vgpr3
                                        ; implicit-def: $sgpr4
	v_dual_cndmask_b32 v30, 0, v5 :: v_dual_cndmask_b32 v29, 56, v4
	v_cmpx_gt_u64_e32 8, v[4:5]
	s_xor_b32 s1, exec_lo, s1
	s_cbranch_execz .LBB0_9
; %bb.4:                                ;   in Loop: Header=BB0_3 Depth=1
	s_waitcnt vmcnt(0)
	v_mov_b32_e32 v2, 0
	v_mov_b32_e32 v3, 0
	s_mov_b64 s[4:5], 0
	s_mov_b32 s6, exec_lo
	v_cmpx_ne_u64_e32 0, v[4:5]
	s_cbranch_execz .LBB0_8
; %bb.5:                                ;   in Loop: Header=BB0_3 Depth=1
	v_lshlrev_b64 v[13:14], 3, v[29:30]
	v_dual_mov_b32 v2, 0 :: v_dual_mov_b32 v15, v8
	v_dual_mov_b32 v3, 0 :: v_dual_mov_b32 v14, v7
	s_mov_b32 s7, 0
	.p2align	6
.LBB0_6:                                ;   Parent Loop BB0_3 Depth=1
                                        ; =>  This Inner Loop Header: Depth=2
	flat_load_u8 v9, v[14:15]
	v_mov_b32_e32 v17, s11
	v_add_co_u32 v14, vcc_lo, v14, 1
	v_add_co_ci_u32_e32 v15, vcc_lo, 0, v15, vcc_lo
	s_waitcnt vmcnt(0) lgkmcnt(0)
	v_and_b32_e32 v16, 0xffff, v9
	s_delay_alu instid0(VALU_DEP_1) | instskip(SKIP_3) | instid1(VALU_DEP_2)
	v_lshlrev_b64 v[16:17], s4, v[16:17]
	s_add_u32 s4, s4, 8
	s_addc_u32 s5, s5, 0
	v_cmp_eq_u32_e64 s0, s4, v13
	v_or_b32_e32 v3, v17, v3
	s_delay_alu instid0(VALU_DEP_3) | instskip(NEXT) | instid1(VALU_DEP_3)
	v_or_b32_e32 v2, v16, v2
	s_or_b32 s7, s0, s7
	s_delay_alu instid0(SALU_CYCLE_1)
	s_and_not1_b32 exec_lo, exec_lo, s7
	s_cbranch_execnz .LBB0_6
; %bb.7:                                ;   in Loop: Header=BB0_3 Depth=1
	s_or_b32 exec_lo, exec_lo, s7
.LBB0_8:                                ;   in Loop: Header=BB0_3 Depth=1
	s_delay_alu instid0(SALU_CYCLE_1)
	s_or_b32 exec_lo, exec_lo, s6
	s_mov_b32 s4, 0
.LBB0_9:                                ;   in Loop: Header=BB0_3 Depth=1
	s_or_saveexec_b32 s0, s1
	v_dual_mov_b32 v9, s4 :: v_dual_mov_b32 v26, v8
	v_mov_b32_e32 v25, v7
	s_xor_b32 exec_lo, exec_lo, s0
	s_cbranch_execz .LBB0_11
; %bb.10:                               ;   in Loop: Header=BB0_3 Depth=1
	s_waitcnt vmcnt(0)
	flat_load_b64 v[2:3], v[7:8]
	v_add_co_u32 v25, vcc_lo, v7, 8
	v_add_co_ci_u32_e32 v26, vcc_lo, 0, v8, vcc_lo
	s_waitcnt vmcnt(0) lgkmcnt(0)
	v_and_b32_e32 v9, 0xff, v3
	v_and_b32_e32 v13, 0xff00, v3
	;; [unrolled: 1-line block ×4, first 2 shown]
	v_or3_b32 v2, v2, 0, 0
	s_delay_alu instid0(VALU_DEP_4) | instskip(SKIP_1) | instid1(VALU_DEP_2)
	v_or_b32_e32 v13, v9, v13
	v_add_nc_u32_e32 v9, -8, v29
	v_or3_b32 v3, v13, v14, v3
.LBB0_11:                               ;   in Loop: Header=BB0_3 Depth=1
	s_or_b32 exec_lo, exec_lo, s0
                                        ; implicit-def: $vgpr13_vgpr14
                                        ; implicit-def: $sgpr1
	s_delay_alu instid0(SALU_CYCLE_1) | instskip(NEXT) | instid1(VALU_DEP_2)
	s_mov_b32 s0, exec_lo
	v_cmpx_gt_u32_e32 8, v9
	s_xor_b32 s6, exec_lo, s0
	s_cbranch_execz .LBB0_17
; %bb.12:                               ;   in Loop: Header=BB0_3 Depth=1
	v_mov_b32_e32 v13, 0
	v_mov_b32_e32 v14, 0
	s_mov_b32 s7, exec_lo
	v_cmpx_ne_u32_e32 0, v9
	s_cbranch_execz .LBB0_16
; %bb.13:                               ;   in Loop: Header=BB0_3 Depth=1
	v_mov_b32_e32 v13, 0
	v_mov_b32_e32 v14, 0
	s_mov_b64 s[0:1], 0
	s_mov_b32 s13, 0
	s_mov_b64 s[4:5], 0
	.p2align	6
.LBB0_14:                               ;   Parent Loop BB0_3 Depth=1
                                        ; =>  This Inner Loop Header: Depth=2
	s_delay_alu instid0(SALU_CYCLE_1)
	v_add_co_u32 v15, vcc_lo, v25, s4
	v_add_co_ci_u32_e32 v16, vcc_lo, s5, v26, vcc_lo
	s_add_u32 s4, s4, 1
	s_addc_u32 s5, s5, 0
	v_cmp_eq_u32_e32 vcc_lo, s4, v9
	flat_load_u8 v15, v[15:16]
	s_waitcnt vmcnt(0) lgkmcnt(0)
	v_dual_mov_b32 v16, s11 :: v_dual_and_b32 v15, 0xffff, v15
	s_delay_alu instid0(VALU_DEP_1) | instskip(SKIP_3) | instid1(VALU_DEP_1)
	v_lshlrev_b64 v[15:16], s0, v[15:16]
	s_add_u32 s0, s0, 8
	s_addc_u32 s1, s1, 0
	s_or_b32 s13, vcc_lo, s13
	v_or_b32_e32 v14, v16, v14
	s_delay_alu instid0(VALU_DEP_2)
	v_or_b32_e32 v13, v15, v13
	s_and_not1_b32 exec_lo, exec_lo, s13
	s_cbranch_execnz .LBB0_14
; %bb.15:                               ;   in Loop: Header=BB0_3 Depth=1
	s_or_b32 exec_lo, exec_lo, s13
.LBB0_16:                               ;   in Loop: Header=BB0_3 Depth=1
	s_delay_alu instid0(SALU_CYCLE_1)
	s_or_b32 exec_lo, exec_lo, s7
	s_mov_b32 s1, 0
                                        ; implicit-def: $vgpr9
.LBB0_17:                               ;   in Loop: Header=BB0_3 Depth=1
	s_or_saveexec_b32 s0, s6
	v_mov_b32_e32 v17, s1
	s_xor_b32 exec_lo, exec_lo, s0
	s_cbranch_execz .LBB0_19
; %bb.18:                               ;   in Loop: Header=BB0_3 Depth=1
	flat_load_b64 v[13:14], v[25:26]
	v_add_co_u32 v25, vcc_lo, v25, 8
	v_add_nc_u32_e32 v17, -8, v9
	v_add_co_ci_u32_e32 v26, vcc_lo, 0, v26, vcc_lo
	s_waitcnt vmcnt(0) lgkmcnt(0)
	v_and_b32_e32 v15, 0xff, v14
	v_and_b32_e32 v16, 0xff00, v14
	;; [unrolled: 1-line block ×4, first 2 shown]
	v_or3_b32 v13, v13, 0, 0
	s_delay_alu instid0(VALU_DEP_4) | instskip(NEXT) | instid1(VALU_DEP_1)
	v_or_b32_e32 v15, v15, v16
	v_or3_b32 v14, v15, v18, v14
.LBB0_19:                               ;   in Loop: Header=BB0_3 Depth=1
	s_or_b32 exec_lo, exec_lo, s0
                                        ; implicit-def: $sgpr1
	s_delay_alu instid0(SALU_CYCLE_1)
	s_mov_b32 s0, exec_lo
	v_cmpx_gt_u32_e32 8, v17
	s_xor_b32 s6, exec_lo, s0
	s_cbranch_execz .LBB0_25
; %bb.20:                               ;   in Loop: Header=BB0_3 Depth=1
	v_mov_b32_e32 v15, 0
	v_mov_b32_e32 v16, 0
	s_mov_b32 s7, exec_lo
	v_cmpx_ne_u32_e32 0, v17
	s_cbranch_execz .LBB0_24
; %bb.21:                               ;   in Loop: Header=BB0_3 Depth=1
	v_mov_b32_e32 v15, 0
	v_mov_b32_e32 v16, 0
	s_mov_b64 s[0:1], 0
	s_mov_b32 s13, 0
	s_mov_b64 s[4:5], 0
	.p2align	6
.LBB0_22:                               ;   Parent Loop BB0_3 Depth=1
                                        ; =>  This Inner Loop Header: Depth=2
	s_delay_alu instid0(SALU_CYCLE_1)
	v_add_co_u32 v18, vcc_lo, v25, s4
	v_add_co_ci_u32_e32 v19, vcc_lo, s5, v26, vcc_lo
	s_add_u32 s4, s4, 1
	s_addc_u32 s5, s5, 0
	v_cmp_eq_u32_e32 vcc_lo, s4, v17
	flat_load_u8 v9, v[18:19]
	s_waitcnt vmcnt(0) lgkmcnt(0)
	v_dual_mov_b32 v19, s11 :: v_dual_and_b32 v18, 0xffff, v9
	s_delay_alu instid0(VALU_DEP_1) | instskip(SKIP_3) | instid1(VALU_DEP_1)
	v_lshlrev_b64 v[18:19], s0, v[18:19]
	s_add_u32 s0, s0, 8
	s_addc_u32 s1, s1, 0
	s_or_b32 s13, vcc_lo, s13
	v_or_b32_e32 v16, v19, v16
	s_delay_alu instid0(VALU_DEP_2)
	v_or_b32_e32 v15, v18, v15
	s_and_not1_b32 exec_lo, exec_lo, s13
	s_cbranch_execnz .LBB0_22
; %bb.23:                               ;   in Loop: Header=BB0_3 Depth=1
	s_or_b32 exec_lo, exec_lo, s13
.LBB0_24:                               ;   in Loop: Header=BB0_3 Depth=1
	s_delay_alu instid0(SALU_CYCLE_1)
	s_or_b32 exec_lo, exec_lo, s7
	s_mov_b32 s1, 0
                                        ; implicit-def: $vgpr17
.LBB0_25:                               ;   in Loop: Header=BB0_3 Depth=1
	s_or_saveexec_b32 s0, s6
	v_mov_b32_e32 v9, s1
	s_xor_b32 exec_lo, exec_lo, s0
	s_cbranch_execz .LBB0_27
; %bb.26:                               ;   in Loop: Header=BB0_3 Depth=1
	flat_load_b64 v[15:16], v[25:26]
	v_add_co_u32 v25, vcc_lo, v25, 8
	v_add_co_ci_u32_e32 v26, vcc_lo, 0, v26, vcc_lo
	s_waitcnt vmcnt(0) lgkmcnt(0)
	v_and_b32_e32 v9, 0xff, v16
	v_and_b32_e32 v18, 0xff00, v16
	;; [unrolled: 1-line block ×4, first 2 shown]
	v_or3_b32 v15, v15, 0, 0
	s_delay_alu instid0(VALU_DEP_4) | instskip(SKIP_1) | instid1(VALU_DEP_2)
	v_or_b32_e32 v18, v9, v18
	v_add_nc_u32_e32 v9, -8, v17
	v_or3_b32 v16, v18, v19, v16
.LBB0_27:                               ;   in Loop: Header=BB0_3 Depth=1
	s_or_b32 exec_lo, exec_lo, s0
                                        ; implicit-def: $vgpr17_vgpr18
                                        ; implicit-def: $sgpr1
	s_delay_alu instid0(SALU_CYCLE_1) | instskip(NEXT) | instid1(VALU_DEP_1)
	s_mov_b32 s0, exec_lo
	v_cmpx_gt_u32_e32 8, v9
	s_xor_b32 s6, exec_lo, s0
	s_cbranch_execz .LBB0_33
; %bb.28:                               ;   in Loop: Header=BB0_3 Depth=1
	v_mov_b32_e32 v17, 0
	v_mov_b32_e32 v18, 0
	s_mov_b32 s7, exec_lo
	v_cmpx_ne_u32_e32 0, v9
	s_cbranch_execz .LBB0_32
; %bb.29:                               ;   in Loop: Header=BB0_3 Depth=1
	v_mov_b32_e32 v17, 0
	v_mov_b32_e32 v18, 0
	s_mov_b64 s[0:1], 0
	s_mov_b32 s13, 0
	s_mov_b64 s[4:5], 0
	.p2align	6
.LBB0_30:                               ;   Parent Loop BB0_3 Depth=1
                                        ; =>  This Inner Loop Header: Depth=2
	s_delay_alu instid0(SALU_CYCLE_1)
	v_add_co_u32 v19, vcc_lo, v25, s4
	v_add_co_ci_u32_e32 v20, vcc_lo, s5, v26, vcc_lo
	s_add_u32 s4, s4, 1
	s_addc_u32 s5, s5, 0
	v_cmp_eq_u32_e32 vcc_lo, s4, v9
	flat_load_u8 v19, v[19:20]
	s_waitcnt vmcnt(0) lgkmcnt(0)
	v_dual_mov_b32 v20, s11 :: v_dual_and_b32 v19, 0xffff, v19
	s_delay_alu instid0(VALU_DEP_1) | instskip(SKIP_3) | instid1(VALU_DEP_1)
	v_lshlrev_b64 v[19:20], s0, v[19:20]
	s_add_u32 s0, s0, 8
	s_addc_u32 s1, s1, 0
	s_or_b32 s13, vcc_lo, s13
	v_or_b32_e32 v18, v20, v18
	s_delay_alu instid0(VALU_DEP_2)
	v_or_b32_e32 v17, v19, v17
	s_and_not1_b32 exec_lo, exec_lo, s13
	s_cbranch_execnz .LBB0_30
; %bb.31:                               ;   in Loop: Header=BB0_3 Depth=1
	s_or_b32 exec_lo, exec_lo, s13
.LBB0_32:                               ;   in Loop: Header=BB0_3 Depth=1
	s_delay_alu instid0(SALU_CYCLE_1)
	s_or_b32 exec_lo, exec_lo, s7
	s_mov_b32 s1, 0
                                        ; implicit-def: $vgpr9
.LBB0_33:                               ;   in Loop: Header=BB0_3 Depth=1
	s_or_saveexec_b32 s0, s6
	v_mov_b32_e32 v21, s1
	s_xor_b32 exec_lo, exec_lo, s0
	s_cbranch_execz .LBB0_35
; %bb.34:                               ;   in Loop: Header=BB0_3 Depth=1
	flat_load_b64 v[17:18], v[25:26]
	v_add_co_u32 v25, vcc_lo, v25, 8
	v_add_nc_u32_e32 v21, -8, v9
	v_add_co_ci_u32_e32 v26, vcc_lo, 0, v26, vcc_lo
	s_waitcnt vmcnt(0) lgkmcnt(0)
	v_and_b32_e32 v19, 0xff, v18
	v_and_b32_e32 v20, 0xff00, v18
	;; [unrolled: 1-line block ×4, first 2 shown]
	v_or3_b32 v17, v17, 0, 0
	s_delay_alu instid0(VALU_DEP_4) | instskip(NEXT) | instid1(VALU_DEP_1)
	v_or_b32_e32 v19, v19, v20
	v_or3_b32 v18, v19, v22, v18
.LBB0_35:                               ;   in Loop: Header=BB0_3 Depth=1
	s_or_b32 exec_lo, exec_lo, s0
                                        ; implicit-def: $sgpr1
	s_delay_alu instid0(SALU_CYCLE_1)
	s_mov_b32 s0, exec_lo
	v_cmpx_gt_u32_e32 8, v21
	s_xor_b32 s6, exec_lo, s0
	s_cbranch_execz .LBB0_41
; %bb.36:                               ;   in Loop: Header=BB0_3 Depth=1
	v_mov_b32_e32 v19, 0
	v_mov_b32_e32 v20, 0
	s_mov_b32 s7, exec_lo
	v_cmpx_ne_u32_e32 0, v21
	s_cbranch_execz .LBB0_40
; %bb.37:                               ;   in Loop: Header=BB0_3 Depth=1
	v_mov_b32_e32 v19, 0
	v_mov_b32_e32 v20, 0
	s_mov_b64 s[0:1], 0
	s_mov_b32 s13, 0
	s_mov_b64 s[4:5], 0
	.p2align	6
.LBB0_38:                               ;   Parent Loop BB0_3 Depth=1
                                        ; =>  This Inner Loop Header: Depth=2
	s_delay_alu instid0(SALU_CYCLE_1)
	v_add_co_u32 v22, vcc_lo, v25, s4
	v_add_co_ci_u32_e32 v23, vcc_lo, s5, v26, vcc_lo
	s_add_u32 s4, s4, 1
	s_addc_u32 s5, s5, 0
	v_cmp_eq_u32_e32 vcc_lo, s4, v21
	flat_load_u8 v9, v[22:23]
	s_waitcnt vmcnt(0) lgkmcnt(0)
	v_dual_mov_b32 v23, s11 :: v_dual_and_b32 v22, 0xffff, v9
	s_delay_alu instid0(VALU_DEP_1) | instskip(SKIP_3) | instid1(VALU_DEP_1)
	v_lshlrev_b64 v[22:23], s0, v[22:23]
	s_add_u32 s0, s0, 8
	s_addc_u32 s1, s1, 0
	s_or_b32 s13, vcc_lo, s13
	v_or_b32_e32 v20, v23, v20
	s_delay_alu instid0(VALU_DEP_2)
	v_or_b32_e32 v19, v22, v19
	s_and_not1_b32 exec_lo, exec_lo, s13
	s_cbranch_execnz .LBB0_38
; %bb.39:                               ;   in Loop: Header=BB0_3 Depth=1
	s_or_b32 exec_lo, exec_lo, s13
.LBB0_40:                               ;   in Loop: Header=BB0_3 Depth=1
	s_delay_alu instid0(SALU_CYCLE_1)
	s_or_b32 exec_lo, exec_lo, s7
	s_mov_b32 s1, 0
                                        ; implicit-def: $vgpr21
.LBB0_41:                               ;   in Loop: Header=BB0_3 Depth=1
	s_or_saveexec_b32 s0, s6
	v_mov_b32_e32 v9, s1
	s_xor_b32 exec_lo, exec_lo, s0
	s_cbranch_execz .LBB0_43
; %bb.42:                               ;   in Loop: Header=BB0_3 Depth=1
	flat_load_b64 v[19:20], v[25:26]
	v_add_co_u32 v25, vcc_lo, v25, 8
	v_add_co_ci_u32_e32 v26, vcc_lo, 0, v26, vcc_lo
	s_waitcnt vmcnt(0) lgkmcnt(0)
	v_and_b32_e32 v9, 0xff, v20
	v_and_b32_e32 v22, 0xff00, v20
	;; [unrolled: 1-line block ×4, first 2 shown]
	v_or3_b32 v19, v19, 0, 0
	s_delay_alu instid0(VALU_DEP_4) | instskip(SKIP_1) | instid1(VALU_DEP_2)
	v_or_b32_e32 v22, v9, v22
	v_add_nc_u32_e32 v9, -8, v21
	v_or3_b32 v20, v22, v23, v20
.LBB0_43:                               ;   in Loop: Header=BB0_3 Depth=1
	s_or_b32 exec_lo, exec_lo, s0
                                        ; implicit-def: $vgpr21_vgpr22
                                        ; implicit-def: $sgpr1
	s_delay_alu instid0(SALU_CYCLE_1) | instskip(NEXT) | instid1(VALU_DEP_1)
	s_mov_b32 s0, exec_lo
	v_cmpx_gt_u32_e32 8, v9
	s_xor_b32 s6, exec_lo, s0
	s_cbranch_execz .LBB0_49
; %bb.44:                               ;   in Loop: Header=BB0_3 Depth=1
	v_mov_b32_e32 v21, 0
	v_mov_b32_e32 v22, 0
	s_mov_b32 s7, exec_lo
	v_cmpx_ne_u32_e32 0, v9
	s_cbranch_execz .LBB0_48
; %bb.45:                               ;   in Loop: Header=BB0_3 Depth=1
	v_mov_b32_e32 v21, 0
	v_mov_b32_e32 v22, 0
	s_mov_b64 s[0:1], 0
	s_mov_b32 s13, 0
	s_mov_b64 s[4:5], 0
	.p2align	6
.LBB0_46:                               ;   Parent Loop BB0_3 Depth=1
                                        ; =>  This Inner Loop Header: Depth=2
	s_delay_alu instid0(SALU_CYCLE_1)
	v_add_co_u32 v23, vcc_lo, v25, s4
	v_add_co_ci_u32_e32 v24, vcc_lo, s5, v26, vcc_lo
	s_add_u32 s4, s4, 1
	s_addc_u32 s5, s5, 0
	v_cmp_eq_u32_e32 vcc_lo, s4, v9
	flat_load_u8 v23, v[23:24]
	s_waitcnt vmcnt(0) lgkmcnt(0)
	v_dual_mov_b32 v24, s11 :: v_dual_and_b32 v23, 0xffff, v23
	s_delay_alu instid0(VALU_DEP_1) | instskip(SKIP_3) | instid1(VALU_DEP_1)
	v_lshlrev_b64 v[23:24], s0, v[23:24]
	s_add_u32 s0, s0, 8
	s_addc_u32 s1, s1, 0
	s_or_b32 s13, vcc_lo, s13
	v_or_b32_e32 v22, v24, v22
	s_delay_alu instid0(VALU_DEP_2)
	v_or_b32_e32 v21, v23, v21
	s_and_not1_b32 exec_lo, exec_lo, s13
	s_cbranch_execnz .LBB0_46
; %bb.47:                               ;   in Loop: Header=BB0_3 Depth=1
	s_or_b32 exec_lo, exec_lo, s13
.LBB0_48:                               ;   in Loop: Header=BB0_3 Depth=1
	s_delay_alu instid0(SALU_CYCLE_1)
	s_or_b32 exec_lo, exec_lo, s7
	s_mov_b32 s1, 0
                                        ; implicit-def: $vgpr9
.LBB0_49:                               ;   in Loop: Header=BB0_3 Depth=1
	s_or_saveexec_b32 s0, s6
	v_mov_b32_e32 v27, s1
	s_xor_b32 exec_lo, exec_lo, s0
	s_cbranch_execz .LBB0_51
; %bb.50:                               ;   in Loop: Header=BB0_3 Depth=1
	flat_load_b64 v[21:22], v[25:26]
	v_add_co_u32 v25, vcc_lo, v25, 8
	v_add_nc_u32_e32 v27, -8, v9
	v_add_co_ci_u32_e32 v26, vcc_lo, 0, v26, vcc_lo
	s_waitcnt vmcnt(0) lgkmcnt(0)
	v_and_b32_e32 v23, 0xff, v22
	v_and_b32_e32 v24, 0xff00, v22
	;; [unrolled: 1-line block ×4, first 2 shown]
	v_or3_b32 v21, v21, 0, 0
	s_delay_alu instid0(VALU_DEP_4) | instskip(NEXT) | instid1(VALU_DEP_1)
	v_or_b32_e32 v23, v23, v24
	v_or3_b32 v22, v23, v28, v22
.LBB0_51:                               ;   in Loop: Header=BB0_3 Depth=1
	s_or_b32 exec_lo, exec_lo, s0
	s_delay_alu instid0(SALU_CYCLE_1)
	s_mov_b32 s0, exec_lo
	v_cmpx_gt_u32_e32 8, v27
	s_xor_b32 s4, exec_lo, s0
	s_cbranch_execz .LBB0_57
; %bb.52:                               ;   in Loop: Header=BB0_3 Depth=1
	v_mov_b32_e32 v23, 0
	v_mov_b32_e32 v24, 0
	s_mov_b32 s5, exec_lo
	v_cmpx_ne_u32_e32 0, v27
	s_cbranch_execz .LBB0_56
; %bb.53:                               ;   in Loop: Header=BB0_3 Depth=1
	v_mov_b32_e32 v23, 0
	v_mov_b32_e32 v24, 0
	s_mov_b64 s[0:1], 0
	s_mov_b32 s6, 0
	.p2align	6
.LBB0_54:                               ;   Parent Loop BB0_3 Depth=1
                                        ; =>  This Inner Loop Header: Depth=2
	flat_load_u8 v9, v[25:26]
	v_dual_mov_b32 v32, s11 :: v_dual_add_nc_u32 v27, -1, v27
	v_add_co_u32 v25, vcc_lo, v25, 1
	v_add_co_ci_u32_e32 v26, vcc_lo, 0, v26, vcc_lo
	s_delay_alu instid0(VALU_DEP_3) | instskip(SKIP_2) | instid1(VALU_DEP_1)
	v_cmp_eq_u32_e32 vcc_lo, 0, v27
	s_waitcnt vmcnt(0) lgkmcnt(0)
	v_and_b32_e32 v31, 0xffff, v9
	v_lshlrev_b64 v[31:32], s0, v[31:32]
	s_add_u32 s0, s0, 8
	s_addc_u32 s1, s1, 0
	s_or_b32 s6, vcc_lo, s6
	s_delay_alu instid0(VALU_DEP_1) | instskip(NEXT) | instid1(VALU_DEP_2)
	v_or_b32_e32 v24, v32, v24
	v_or_b32_e32 v23, v31, v23
	s_and_not1_b32 exec_lo, exec_lo, s6
	s_cbranch_execnz .LBB0_54
; %bb.55:                               ;   in Loop: Header=BB0_3 Depth=1
	s_or_b32 exec_lo, exec_lo, s6
.LBB0_56:                               ;   in Loop: Header=BB0_3 Depth=1
	s_delay_alu instid0(SALU_CYCLE_1)
	s_or_b32 exec_lo, exec_lo, s5
                                        ; implicit-def: $vgpr25_vgpr26
.LBB0_57:                               ;   in Loop: Header=BB0_3 Depth=1
	s_and_not1_saveexec_b32 s0, s4
	s_cbranch_execz .LBB0_59
; %bb.58:                               ;   in Loop: Header=BB0_3 Depth=1
	flat_load_b64 v[23:24], v[25:26]
	s_waitcnt vmcnt(0) lgkmcnt(0)
	v_and_b32_e32 v9, 0xff, v24
	v_and_b32_e32 v25, 0xff00, v24
	;; [unrolled: 1-line block ×4, first 2 shown]
	v_or3_b32 v23, v23, 0, 0
	s_delay_alu instid0(VALU_DEP_4) | instskip(NEXT) | instid1(VALU_DEP_1)
	v_or_b32_e32 v9, v9, v25
	v_or3_b32 v24, v9, v26, v24
.LBB0_59:                               ;   in Loop: Header=BB0_3 Depth=1
	s_or_b32 exec_lo, exec_lo, s0
	v_readfirstlane_b32 s0, v33
	v_mov_b32_e32 v31, 0
	v_mov_b32_e32 v32, 0
	s_delay_alu instid0(VALU_DEP_3) | instskip(NEXT) | instid1(VALU_DEP_1)
	v_cmp_eq_u32_e64 s0, s0, v33
	s_and_saveexec_b32 s1, s0
	s_cbranch_execz .LBB0_65
; %bb.60:                               ;   in Loop: Header=BB0_3 Depth=1
	s_waitcnt lgkmcnt(0)
	global_load_b64 v[27:28], v10, s[2:3] offset:24 glc
	s_waitcnt vmcnt(0)
	buffer_gl1_inv
	buffer_gl0_inv
	s_clause 0x1
	global_load_b64 v[25:26], v10, s[2:3] offset:40
	global_load_b64 v[31:32], v10, s[2:3]
	s_mov_b32 s4, exec_lo
	s_waitcnt vmcnt(1)
	v_and_b32_e32 v9, v26, v28
	v_and_b32_e32 v25, v25, v27
	s_delay_alu instid0(VALU_DEP_2) | instskip(NEXT) | instid1(VALU_DEP_2)
	v_mul_lo_u32 v9, v9, 24
	v_mul_hi_u32 v26, v25, 24
	v_mul_lo_u32 v25, v25, 24
	s_delay_alu instid0(VALU_DEP_2) | instskip(SKIP_1) | instid1(VALU_DEP_2)
	v_add_nc_u32_e32 v9, v26, v9
	s_waitcnt vmcnt(0)
	v_add_co_u32 v25, vcc_lo, v31, v25
	s_delay_alu instid0(VALU_DEP_2)
	v_add_co_ci_u32_e32 v26, vcc_lo, v32, v9, vcc_lo
	global_load_b64 v[25:26], v[25:26], off glc
	s_waitcnt vmcnt(0)
	global_atomic_cmpswap_b64 v[31:32], v10, v[25:28], s[2:3] offset:24 glc
	s_waitcnt vmcnt(0)
	buffer_gl1_inv
	buffer_gl0_inv
	v_cmpx_ne_u64_e64 v[31:32], v[27:28]
	s_cbranch_execz .LBB0_64
; %bb.61:                               ;   in Loop: Header=BB0_3 Depth=1
	s_mov_b32 s5, 0
	.p2align	6
.LBB0_62:                               ;   Parent Loop BB0_3 Depth=1
                                        ; =>  This Inner Loop Header: Depth=2
	s_sleep 1
	s_clause 0x1
	global_load_b64 v[25:26], v10, s[2:3] offset:40
	global_load_b64 v[34:35], v10, s[2:3]
	v_dual_mov_b32 v27, v31 :: v_dual_mov_b32 v28, v32
	s_waitcnt vmcnt(1)
	s_delay_alu instid0(VALU_DEP_1) | instskip(SKIP_1) | instid1(VALU_DEP_1)
	v_and_b32_e32 v9, v25, v27
	s_waitcnt vmcnt(0)
	v_mad_u64_u32 v[31:32], null, v9, 24, v[34:35]
	s_delay_alu instid0(VALU_DEP_1) | instskip(NEXT) | instid1(VALU_DEP_1)
	v_dual_mov_b32 v9, v32 :: v_dual_and_b32 v34, v26, v28
	v_mad_u64_u32 v[25:26], null, v34, 24, v[9:10]
	s_delay_alu instid0(VALU_DEP_1)
	v_mov_b32_e32 v32, v25
	global_load_b64 v[25:26], v[31:32], off glc
	s_waitcnt vmcnt(0)
	global_atomic_cmpswap_b64 v[31:32], v10, v[25:28], s[2:3] offset:24 glc
	s_waitcnt vmcnt(0)
	buffer_gl1_inv
	buffer_gl0_inv
	v_cmp_eq_u64_e32 vcc_lo, v[31:32], v[27:28]
	s_or_b32 s5, vcc_lo, s5
	s_delay_alu instid0(SALU_CYCLE_1)
	s_and_not1_b32 exec_lo, exec_lo, s5
	s_cbranch_execnz .LBB0_62
; %bb.63:                               ;   in Loop: Header=BB0_3 Depth=1
	s_or_b32 exec_lo, exec_lo, s5
.LBB0_64:                               ;   in Loop: Header=BB0_3 Depth=1
	s_delay_alu instid0(SALU_CYCLE_1)
	s_or_b32 exec_lo, exec_lo, s4
.LBB0_65:                               ;   in Loop: Header=BB0_3 Depth=1
	s_delay_alu instid0(SALU_CYCLE_1)
	s_or_b32 exec_lo, exec_lo, s1
	s_waitcnt lgkmcnt(0)
	s_clause 0x1
	global_load_b64 v[34:35], v10, s[2:3] offset:40
	global_load_b128 v[25:28], v10, s[2:3]
	v_readfirstlane_b32 s4, v31
	v_readfirstlane_b32 s5, v32
	s_mov_b32 s1, exec_lo
	s_waitcnt vmcnt(1)
	v_readfirstlane_b32 s6, v34
	v_readfirstlane_b32 s7, v35
	s_delay_alu instid0(VALU_DEP_1) | instskip(NEXT) | instid1(SALU_CYCLE_1)
	s_and_b64 s[6:7], s[4:5], s[6:7]
	s_mul_i32 s13, s7, 24
	s_mul_hi_u32 s14, s6, 24
	s_mul_i32 s15, s6, 24
	s_add_i32 s14, s14, s13
	s_waitcnt vmcnt(0)
	v_add_co_u32 v31, vcc_lo, v25, s15
	v_add_co_ci_u32_e32 v32, vcc_lo, s14, v26, vcc_lo
	s_and_saveexec_b32 s13, s0
	s_cbranch_execz .LBB0_67
; %bb.66:                               ;   in Loop: Header=BB0_3 Depth=1
	v_mov_b32_e32 v9, s1
	global_store_b128 v[31:32], v[9:12], off offset:8
.LBB0_67:                               ;   in Loop: Header=BB0_3 Depth=1
	s_or_b32 exec_lo, exec_lo, s13
	v_cmp_lt_u64_e32 vcc_lo, 56, v[4:5]
	v_or_b32_e32 v9, 0, v1
	v_or_b32_e32 v34, v0, v6
	v_lshl_add_u32 v35, v29, 2, 28
	s_lshl_b64 s[6:7], s[6:7], 12
	s_delay_alu instid0(SALU_CYCLE_1) | instskip(NEXT) | instid1(VALU_DEP_1)
	v_add_co_u32 v27, s1, v27, s6
	v_add_co_ci_u32_e64 v28, s1, s7, v28, s1
	v_dual_cndmask_b32 v1, v9, v1 :: v_dual_cndmask_b32 v0, v34, v0
	v_and_b32_e32 v9, 0x1e0, v35
	v_lshlrev_b32_e32 v34, 6, v33
	v_readfirstlane_b32 s6, v27
	v_readfirstlane_b32 s7, v28
	s_delay_alu instid0(VALU_DEP_4)
	v_and_or_b32 v0, 0xffffff1f, v0, v9
	s_clause 0x3
	global_store_b128 v34, v[0:3], s[6:7]
	global_store_b128 v34, v[13:16], s[6:7] offset:16
	global_store_b128 v34, v[17:20], s[6:7] offset:32
	;; [unrolled: 1-line block ×3, first 2 shown]
	s_and_saveexec_b32 s1, s0
	s_cbranch_execz .LBB0_75
; %bb.68:                               ;   in Loop: Header=BB0_3 Depth=1
	s_clause 0x1
	global_load_b64 v[17:18], v10, s[2:3] offset:32 glc
	global_load_b64 v[0:1], v10, s[2:3] offset:40
	v_dual_mov_b32 v15, s4 :: v_dual_mov_b32 v16, s5
	s_waitcnt vmcnt(0)
	v_readfirstlane_b32 s6, v0
	v_readfirstlane_b32 s7, v1
	s_delay_alu instid0(VALU_DEP_1) | instskip(NEXT) | instid1(SALU_CYCLE_1)
	s_and_b64 s[6:7], s[6:7], s[4:5]
	s_mul_i32 s7, s7, 24
	s_mul_hi_u32 s13, s6, 24
	s_mul_i32 s6, s6, 24
	s_add_i32 s13, s13, s7
	v_add_co_u32 v13, vcc_lo, v25, s6
	v_add_co_ci_u32_e32 v14, vcc_lo, s13, v26, vcc_lo
	s_mov_b32 s6, exec_lo
	global_store_b64 v[13:14], v[17:18], off
	s_waitcnt_vscnt null, 0x0
	global_atomic_cmpswap_b64 v[2:3], v10, v[15:18], s[2:3] offset:32 glc
	s_waitcnt vmcnt(0)
	v_cmpx_ne_u64_e64 v[2:3], v[17:18]
	s_cbranch_execz .LBB0_71
; %bb.69:                               ;   in Loop: Header=BB0_3 Depth=1
	s_mov_b32 s7, 0
.LBB0_70:                               ;   Parent Loop BB0_3 Depth=1
                                        ; =>  This Inner Loop Header: Depth=2
	v_dual_mov_b32 v0, s4 :: v_dual_mov_b32 v1, s5
	s_sleep 1
	global_store_b64 v[13:14], v[2:3], off
	s_waitcnt_vscnt null, 0x0
	global_atomic_cmpswap_b64 v[0:1], v10, v[0:3], s[2:3] offset:32 glc
	s_waitcnt vmcnt(0)
	v_cmp_eq_u64_e32 vcc_lo, v[0:1], v[2:3]
	v_dual_mov_b32 v3, v1 :: v_dual_mov_b32 v2, v0
	s_or_b32 s7, vcc_lo, s7
	s_delay_alu instid0(SALU_CYCLE_1)
	s_and_not1_b32 exec_lo, exec_lo, s7
	s_cbranch_execnz .LBB0_70
.LBB0_71:                               ;   in Loop: Header=BB0_3 Depth=1
	s_or_b32 exec_lo, exec_lo, s6
	global_load_b64 v[0:1], v10, s[2:3] offset:16
	s_mov_b32 s7, exec_lo
	s_mov_b32 s6, exec_lo
	v_mbcnt_lo_u32_b32 v2, s7, 0
	s_delay_alu instid0(VALU_DEP_1)
	v_cmpx_eq_u32_e32 0, v2
	s_cbranch_execz .LBB0_73
; %bb.72:                               ;   in Loop: Header=BB0_3 Depth=1
	s_bcnt1_i32_b32 s7, s7
	s_delay_alu instid0(SALU_CYCLE_1)
	v_mov_b32_e32 v9, s7
	s_waitcnt vmcnt(0)
	global_atomic_add_u64 v[0:1], v[9:10], off offset:8
.LBB0_73:                               ;   in Loop: Header=BB0_3 Depth=1
	s_or_b32 exec_lo, exec_lo, s6
	s_waitcnt vmcnt(0)
	global_load_b64 v[2:3], v[0:1], off offset:16
	s_waitcnt vmcnt(0)
	v_cmp_eq_u64_e32 vcc_lo, 0, v[2:3]
	s_cbranch_vccnz .LBB0_75
; %bb.74:                               ;   in Loop: Header=BB0_3 Depth=1
	global_load_b32 v9, v[0:1], off offset:24
	s_waitcnt vmcnt(0)
	v_and_b32_e32 v0, 0xffffff, v9
	s_waitcnt_vscnt null, 0x0
	global_store_b64 v[2:3], v[9:10], off
	v_readfirstlane_b32 m0, v0
	s_sendmsg sendmsg(MSG_INTERRUPT)
.LBB0_75:                               ;   in Loop: Header=BB0_3 Depth=1
	s_or_b32 exec_lo, exec_lo, s1
	v_add_co_u32 v0, vcc_lo, v27, v34
	v_add_co_ci_u32_e32 v1, vcc_lo, 0, v28, vcc_lo
	s_branch .LBB0_79
	.p2align	6
.LBB0_76:                               ;   in Loop: Header=BB0_79 Depth=2
	s_or_b32 exec_lo, exec_lo, s1
	s_delay_alu instid0(VALU_DEP_1) | instskip(NEXT) | instid1(VALU_DEP_1)
	v_readfirstlane_b32 s1, v2
	s_cmp_eq_u32 s1, 0
	s_cbranch_scc1 .LBB0_78
; %bb.77:                               ;   in Loop: Header=BB0_79 Depth=2
	s_sleep 1
	s_cbranch_execnz .LBB0_79
	s_branch .LBB0_81
	.p2align	6
.LBB0_78:                               ;   in Loop: Header=BB0_3 Depth=1
	s_branch .LBB0_81
.LBB0_79:                               ;   Parent Loop BB0_3 Depth=1
                                        ; =>  This Inner Loop Header: Depth=2
	v_mov_b32_e32 v2, 1
	s_and_saveexec_b32 s1, s0
	s_cbranch_execz .LBB0_76
; %bb.80:                               ;   in Loop: Header=BB0_79 Depth=2
	global_load_b32 v2, v[31:32], off offset:20 glc
	s_waitcnt vmcnt(0)
	buffer_gl1_inv
	buffer_gl0_inv
	v_and_b32_e32 v2, 1, v2
	s_branch .LBB0_76
.LBB0_81:                               ;   in Loop: Header=BB0_3 Depth=1
	global_load_b128 v[0:3], v[0:1], off
	s_and_saveexec_b32 s1, s0
	s_cbranch_execz .LBB0_2
; %bb.82:                               ;   in Loop: Header=BB0_3 Depth=1
	s_clause 0x2
	global_load_b64 v[2:3], v10, s[2:3] offset:40
	global_load_b64 v[17:18], v10, s[2:3] offset:24 glc
	global_load_b64 v[15:16], v10, s[2:3]
	s_waitcnt vmcnt(2)
	v_add_co_u32 v9, vcc_lo, v2, 1
	v_add_co_ci_u32_e32 v19, vcc_lo, 0, v3, vcc_lo
	s_delay_alu instid0(VALU_DEP_2) | instskip(NEXT) | instid1(VALU_DEP_2)
	v_add_co_u32 v13, vcc_lo, v9, s4
	v_add_co_ci_u32_e32 v14, vcc_lo, s5, v19, vcc_lo
	s_delay_alu instid0(VALU_DEP_1) | instskip(SKIP_1) | instid1(VALU_DEP_1)
	v_cmp_eq_u64_e32 vcc_lo, 0, v[13:14]
	v_dual_cndmask_b32 v14, v14, v19 :: v_dual_cndmask_b32 v13, v13, v9
	v_and_b32_e32 v3, v14, v3
	s_delay_alu instid0(VALU_DEP_2) | instskip(NEXT) | instid1(VALU_DEP_2)
	v_and_b32_e32 v2, v13, v2
	v_mul_lo_u32 v3, v3, 24
	s_delay_alu instid0(VALU_DEP_2) | instskip(SKIP_1) | instid1(VALU_DEP_2)
	v_mul_hi_u32 v9, v2, 24
	v_mul_lo_u32 v2, v2, 24
	v_add_nc_u32_e32 v3, v9, v3
	s_waitcnt vmcnt(0)
	s_delay_alu instid0(VALU_DEP_2) | instskip(SKIP_1) | instid1(VALU_DEP_3)
	v_add_co_u32 v2, vcc_lo, v15, v2
	v_mov_b32_e32 v15, v17
	v_add_co_ci_u32_e32 v3, vcc_lo, v16, v3, vcc_lo
	v_mov_b32_e32 v16, v18
	global_store_b64 v[2:3], v[17:18], off
	s_waitcnt_vscnt null, 0x0
	global_atomic_cmpswap_b64 v[15:16], v10, v[13:16], s[2:3] offset:24 glc
	s_waitcnt vmcnt(0)
	v_cmp_ne_u64_e32 vcc_lo, v[15:16], v[17:18]
	s_and_b32 exec_lo, exec_lo, vcc_lo
	s_cbranch_execz .LBB0_2
; %bb.83:                               ;   in Loop: Header=BB0_3 Depth=1
	s_mov_b32 s0, 0
.LBB0_84:                               ;   Parent Loop BB0_3 Depth=1
                                        ; =>  This Inner Loop Header: Depth=2
	s_sleep 1
	global_store_b64 v[2:3], v[15:16], off
	s_waitcnt_vscnt null, 0x0
	global_atomic_cmpswap_b64 v[17:18], v10, v[13:16], s[2:3] offset:24 glc
	s_waitcnt vmcnt(0)
	v_cmp_eq_u64_e32 vcc_lo, v[17:18], v[15:16]
	v_dual_mov_b32 v15, v17 :: v_dual_mov_b32 v16, v18
	s_or_b32 s0, vcc_lo, s0
	s_delay_alu instid0(SALU_CYCLE_1)
	s_and_not1_b32 exec_lo, exec_lo, s0
	s_cbranch_execnz .LBB0_84
	s_branch .LBB0_2
.LBB0_85:
	s_or_b32 exec_lo, exec_lo, s12
                                        ; implicit-def: $vgpr0
                                        ; implicit-def: $vgpr33
                                        ; implicit-def: $vgpr1
.LBB0_86:
	s_and_not1_saveexec_b32 s1, s10
	s_cbranch_execz .LBB0_108
; %bb.87:
	s_load_b64 s[2:3], s[8:9], 0x50
	v_readfirstlane_b32 s0, v33
	v_mov_b32_e32 v8, 0
	v_mov_b32_e32 v9, 0
	s_delay_alu instid0(VALU_DEP_3) | instskip(NEXT) | instid1(VALU_DEP_1)
	v_cmp_eq_u32_e64 s0, s0, v33
	s_and_saveexec_b32 s4, s0
	s_cbranch_execz .LBB0_93
; %bb.88:
	s_waitcnt vmcnt(0)
	v_mov_b32_e32 v2, 0
	s_mov_b32 s5, exec_lo
	s_waitcnt lgkmcnt(0)
	global_load_b64 v[5:6], v2, s[2:3] offset:24 glc
	s_waitcnt vmcnt(0)
	buffer_gl1_inv
	buffer_gl0_inv
	s_clause 0x1
	global_load_b64 v[3:4], v2, s[2:3] offset:40
	global_load_b64 v[7:8], v2, s[2:3]
	s_waitcnt vmcnt(1)
	v_and_b32_e32 v3, v3, v5
	v_and_b32_e32 v4, v4, v6
	s_delay_alu instid0(VALU_DEP_2) | instskip(NEXT) | instid1(VALU_DEP_2)
	v_mul_hi_u32 v9, v3, 24
	v_mul_lo_u32 v4, v4, 24
	v_mul_lo_u32 v3, v3, 24
	s_delay_alu instid0(VALU_DEP_2) | instskip(SKIP_1) | instid1(VALU_DEP_2)
	v_add_nc_u32_e32 v4, v9, v4
	s_waitcnt vmcnt(0)
	v_add_co_u32 v3, vcc_lo, v7, v3
	s_delay_alu instid0(VALU_DEP_2)
	v_add_co_ci_u32_e32 v4, vcc_lo, v8, v4, vcc_lo
	global_load_b64 v[3:4], v[3:4], off glc
	s_waitcnt vmcnt(0)
	global_atomic_cmpswap_b64 v[8:9], v2, v[3:6], s[2:3] offset:24 glc
	s_waitcnt vmcnt(0)
	buffer_gl1_inv
	buffer_gl0_inv
	v_cmpx_ne_u64_e64 v[8:9], v[5:6]
	s_cbranch_execz .LBB0_92
; %bb.89:
	s_mov_b32 s6, 0
	.p2align	6
.LBB0_90:                               ; =>This Inner Loop Header: Depth=1
	s_sleep 1
	s_clause 0x1
	global_load_b64 v[3:4], v2, s[2:3] offset:40
	global_load_b64 v[10:11], v2, s[2:3]
	v_dual_mov_b32 v5, v8 :: v_dual_mov_b32 v6, v9
	s_waitcnt vmcnt(1)
	s_delay_alu instid0(VALU_DEP_1) | instskip(NEXT) | instid1(VALU_DEP_2)
	v_and_b32_e32 v3, v3, v5
	v_and_b32_e32 v4, v4, v6
	s_waitcnt vmcnt(0)
	s_delay_alu instid0(VALU_DEP_2) | instskip(NEXT) | instid1(VALU_DEP_1)
	v_mad_u64_u32 v[7:8], null, v3, 24, v[10:11]
	v_mov_b32_e32 v3, v8
	s_delay_alu instid0(VALU_DEP_1)
	v_mad_u64_u32 v[8:9], null, v4, 24, v[3:4]
	global_load_b64 v[3:4], v[7:8], off glc
	s_waitcnt vmcnt(0)
	global_atomic_cmpswap_b64 v[8:9], v2, v[3:6], s[2:3] offset:24 glc
	s_waitcnt vmcnt(0)
	buffer_gl1_inv
	buffer_gl0_inv
	v_cmp_eq_u64_e32 vcc_lo, v[8:9], v[5:6]
	s_or_b32 s6, vcc_lo, s6
	s_delay_alu instid0(SALU_CYCLE_1)
	s_and_not1_b32 exec_lo, exec_lo, s6
	s_cbranch_execnz .LBB0_90
; %bb.91:
	s_or_b32 exec_lo, exec_lo, s6
.LBB0_92:
	s_delay_alu instid0(SALU_CYCLE_1)
	s_or_b32 exec_lo, exec_lo, s5
.LBB0_93:
	s_delay_alu instid0(SALU_CYCLE_1)
	s_or_b32 exec_lo, exec_lo, s4
	s_waitcnt vmcnt(0)
	v_mov_b32_e32 v2, 0
	v_readfirstlane_b32 s4, v8
	v_readfirstlane_b32 s5, v9
	s_mov_b32 s8, exec_lo
	s_waitcnt lgkmcnt(0)
	s_clause 0x1
	global_load_b64 v[10:11], v2, s[2:3] offset:40
	global_load_b128 v[4:7], v2, s[2:3]
	s_waitcnt vmcnt(1)
	v_readfirstlane_b32 s6, v10
	v_readfirstlane_b32 s7, v11
	s_delay_alu instid0(VALU_DEP_1) | instskip(NEXT) | instid1(SALU_CYCLE_1)
	s_and_b64 s[6:7], s[4:5], s[6:7]
	s_mul_i32 s9, s7, 24
	s_mul_hi_u32 s10, s6, 24
	s_mul_i32 s11, s6, 24
	s_add_i32 s10, s10, s9
	s_waitcnt vmcnt(0)
	v_add_co_u32 v8, vcc_lo, v4, s11
	v_add_co_ci_u32_e32 v9, vcc_lo, s10, v5, vcc_lo
	s_and_saveexec_b32 s9, s0
	s_cbranch_execz .LBB0_95
; %bb.94:
	v_dual_mov_b32 v10, s8 :: v_dual_mov_b32 v11, v2
	v_dual_mov_b32 v12, 2 :: v_dual_mov_b32 v13, 1
	global_store_b128 v[8:9], v[10:13], off offset:8
.LBB0_95:
	s_or_b32 exec_lo, exec_lo, s9
	s_lshl_b64 s[6:7], s[6:7], 12
	s_mov_b32 s8, 0
	v_add_co_u32 v6, vcc_lo, v6, s6
	v_add_co_ci_u32_e32 v7, vcc_lo, s7, v7, vcc_lo
	s_mov_b32 s11, s8
	s_mov_b32 s9, s8
	;; [unrolled: 1-line block ×3, first 2 shown]
	v_and_or_b32 v0, 0xffffff1f, v0, 32
	v_dual_mov_b32 v3, v2 :: v_dual_lshlrev_b32 v14, 6, v33
	v_readfirstlane_b32 s6, v6
	v_readfirstlane_b32 s7, v7
	v_dual_mov_b32 v13, s11 :: v_dual_mov_b32 v12, s10
	v_dual_mov_b32 v11, s9 :: v_dual_mov_b32 v10, s8
	s_clause 0x3
	global_store_b128 v14, v[0:3], s[6:7]
	global_store_b128 v14, v[10:13], s[6:7] offset:16
	global_store_b128 v14, v[10:13], s[6:7] offset:32
	;; [unrolled: 1-line block ×3, first 2 shown]
	s_and_saveexec_b32 s6, s0
	s_cbranch_execz .LBB0_102
; %bb.96:
	v_mov_b32_e32 v6, 0
	s_mov_b32 s7, exec_lo
	s_clause 0x1
	global_load_b64 v[12:13], v6, s[2:3] offset:32 glc
	global_load_b64 v[0:1], v6, s[2:3] offset:40
	v_dual_mov_b32 v11, s5 :: v_dual_mov_b32 v10, s4
	s_waitcnt vmcnt(0)
	v_and_b32_e32 v1, s5, v1
	v_and_b32_e32 v0, s4, v0
	s_delay_alu instid0(VALU_DEP_2) | instskip(NEXT) | instid1(VALU_DEP_2)
	v_mul_lo_u32 v1, v1, 24
	v_mul_hi_u32 v2, v0, 24
	v_mul_lo_u32 v0, v0, 24
	s_delay_alu instid0(VALU_DEP_2) | instskip(NEXT) | instid1(VALU_DEP_2)
	v_add_nc_u32_e32 v1, v2, v1
	v_add_co_u32 v4, vcc_lo, v4, v0
	s_delay_alu instid0(VALU_DEP_2)
	v_add_co_ci_u32_e32 v5, vcc_lo, v5, v1, vcc_lo
	global_store_b64 v[4:5], v[12:13], off
	s_waitcnt_vscnt null, 0x0
	global_atomic_cmpswap_b64 v[2:3], v6, v[10:13], s[2:3] offset:32 glc
	s_waitcnt vmcnt(0)
	v_cmpx_ne_u64_e64 v[2:3], v[12:13]
	s_cbranch_execz .LBB0_98
.LBB0_97:                               ; =>This Inner Loop Header: Depth=1
	v_dual_mov_b32 v0, s4 :: v_dual_mov_b32 v1, s5
	s_sleep 1
	global_store_b64 v[4:5], v[2:3], off
	s_waitcnt_vscnt null, 0x0
	global_atomic_cmpswap_b64 v[0:1], v6, v[0:3], s[2:3] offset:32 glc
	s_waitcnt vmcnt(0)
	v_cmp_eq_u64_e32 vcc_lo, v[0:1], v[2:3]
	v_dual_mov_b32 v3, v1 :: v_dual_mov_b32 v2, v0
	s_or_b32 s8, vcc_lo, s8
	s_delay_alu instid0(SALU_CYCLE_1)
	s_and_not1_b32 exec_lo, exec_lo, s8
	s_cbranch_execnz .LBB0_97
.LBB0_98:
	s_or_b32 exec_lo, exec_lo, s7
	v_mov_b32_e32 v3, 0
	s_mov_b32 s8, exec_lo
	s_mov_b32 s7, exec_lo
	v_mbcnt_lo_u32_b32 v2, s8, 0
	global_load_b64 v[0:1], v3, s[2:3] offset:16
	v_cmpx_eq_u32_e32 0, v2
	s_cbranch_execz .LBB0_100
; %bb.99:
	s_bcnt1_i32_b32 s8, s8
	s_delay_alu instid0(SALU_CYCLE_1)
	v_mov_b32_e32 v2, s8
	s_waitcnt vmcnt(0)
	global_atomic_add_u64 v[0:1], v[2:3], off offset:8
.LBB0_100:
	s_or_b32 exec_lo, exec_lo, s7
	s_waitcnt vmcnt(0)
	global_load_b64 v[2:3], v[0:1], off offset:16
	s_waitcnt vmcnt(0)
	v_cmp_eq_u64_e32 vcc_lo, 0, v[2:3]
	s_cbranch_vccnz .LBB0_102
; %bb.101:
	global_load_b32 v0, v[0:1], off offset:24
	s_waitcnt vmcnt(0)
	v_dual_mov_b32 v1, 0 :: v_dual_and_b32 v4, 0xffffff, v0
	s_waitcnt_vscnt null, 0x0
	global_store_b64 v[2:3], v[0:1], off
	v_readfirstlane_b32 m0, v4
	s_sendmsg sendmsg(MSG_INTERRUPT)
.LBB0_102:
	s_or_b32 exec_lo, exec_lo, s6
	s_branch .LBB0_106
	.p2align	6
.LBB0_103:                              ;   in Loop: Header=BB0_106 Depth=1
	s_or_b32 exec_lo, exec_lo, s6
	s_delay_alu instid0(VALU_DEP_1) | instskip(NEXT) | instid1(VALU_DEP_1)
	v_readfirstlane_b32 s6, v0
	s_cmp_eq_u32 s6, 0
	s_cbranch_scc1 .LBB0_105
; %bb.104:                              ;   in Loop: Header=BB0_106 Depth=1
	s_sleep 1
	s_cbranch_execnz .LBB0_106
	s_branch .LBB0_109
	.p2align	6
.LBB0_105:
	s_branch .LBB0_109
.LBB0_106:                              ; =>This Inner Loop Header: Depth=1
	v_mov_b32_e32 v0, 1
	s_and_saveexec_b32 s6, s0
	s_cbranch_execz .LBB0_103
; %bb.107:                              ;   in Loop: Header=BB0_106 Depth=1
	global_load_b32 v0, v[8:9], off offset:20 glc
	s_waitcnt vmcnt(0)
	buffer_gl1_inv
	buffer_gl0_inv
	v_and_b32_e32 v0, 1, v0
	s_branch .LBB0_103
.LBB0_108:
	s_or_b32 exec_lo, exec_lo, s1
	s_waitcnt vmcnt(0) lgkmcnt(0)
	s_setpc_b64 s[30:31]
.LBB0_109:
	s_and_saveexec_b32 s6, s0
	s_cbranch_execz .LBB0_113
; %bb.110:
	v_mov_b32_e32 v6, 0
	s_clause 0x2
	global_load_b64 v[2:3], v6, s[2:3] offset:40
	global_load_b64 v[7:8], v6, s[2:3] offset:24 glc
	global_load_b64 v[4:5], v6, s[2:3]
	s_waitcnt vmcnt(2)
	v_add_co_u32 v9, vcc_lo, v2, 1
	v_add_co_ci_u32_e32 v10, vcc_lo, 0, v3, vcc_lo
	s_delay_alu instid0(VALU_DEP_2) | instskip(NEXT) | instid1(VALU_DEP_2)
	v_add_co_u32 v0, vcc_lo, v9, s4
	v_add_co_ci_u32_e32 v1, vcc_lo, s5, v10, vcc_lo
	s_delay_alu instid0(VALU_DEP_1) | instskip(SKIP_1) | instid1(VALU_DEP_1)
	v_cmp_eq_u64_e32 vcc_lo, 0, v[0:1]
	v_dual_cndmask_b32 v1, v1, v10 :: v_dual_cndmask_b32 v0, v0, v9
	v_and_b32_e32 v3, v1, v3
	s_delay_alu instid0(VALU_DEP_2) | instskip(NEXT) | instid1(VALU_DEP_2)
	v_and_b32_e32 v2, v0, v2
	v_mul_lo_u32 v3, v3, 24
	s_delay_alu instid0(VALU_DEP_2) | instskip(SKIP_1) | instid1(VALU_DEP_2)
	v_mul_hi_u32 v9, v2, 24
	v_mul_lo_u32 v2, v2, 24
	v_add_nc_u32_e32 v3, v9, v3
	s_waitcnt vmcnt(0)
	s_delay_alu instid0(VALU_DEP_2) | instskip(SKIP_1) | instid1(VALU_DEP_3)
	v_add_co_u32 v4, vcc_lo, v4, v2
	v_mov_b32_e32 v2, v7
	v_add_co_ci_u32_e32 v5, vcc_lo, v5, v3, vcc_lo
	v_mov_b32_e32 v3, v8
	global_store_b64 v[4:5], v[7:8], off
	s_waitcnt_vscnt null, 0x0
	global_atomic_cmpswap_b64 v[2:3], v6, v[0:3], s[2:3] offset:24 glc
	s_waitcnt vmcnt(0)
	v_cmp_ne_u64_e32 vcc_lo, v[2:3], v[7:8]
	s_and_b32 exec_lo, exec_lo, vcc_lo
	s_cbranch_execz .LBB0_113
; %bb.111:
	s_mov_b32 s0, 0
.LBB0_112:                              ; =>This Inner Loop Header: Depth=1
	s_sleep 1
	global_store_b64 v[4:5], v[2:3], off
	s_waitcnt_vscnt null, 0x0
	global_atomic_cmpswap_b64 v[7:8], v6, v[0:3], s[2:3] offset:24 glc
	s_waitcnt vmcnt(0)
	v_cmp_eq_u64_e32 vcc_lo, v[7:8], v[2:3]
	v_dual_mov_b32 v2, v7 :: v_dual_mov_b32 v3, v8
	s_or_b32 s0, vcc_lo, s0
	s_delay_alu instid0(SALU_CYCLE_1)
	s_and_not1_b32 exec_lo, exec_lo, s0
	s_cbranch_execnz .LBB0_112
.LBB0_113:
	s_or_b32 exec_lo, exec_lo, s6
	s_delay_alu instid0(SALU_CYCLE_1)
	s_or_b32 exec_lo, exec_lo, s1
	s_waitcnt lgkmcnt(0)
	s_setpc_b64 s[30:31]
.Lfunc_end0:
	.size	__ockl_fprintf_append_string_n, .Lfunc_end0-__ockl_fprintf_append_string_n
                                        ; -- End function
	.section	.AMDGPU.csdata,"",@progbits
; Function info:
; codeLenInByte = 4740
; NumSgprs: 34
; NumVgprs: 36
; ScratchSize: 0
; MemoryBound: 0
	.text
	.p2align	2                               ; -- Begin function __assert_fail
	.type	__assert_fail,@function
__assert_fail:                          ; @__assert_fail
; %bb.0:
	s_waitcnt vmcnt(0) expcnt(0) lgkmcnt(0)
	s_mov_b32 s20, s33
	s_mov_b32 s33, s32
	s_or_saveexec_b32 s0, -1
	scratch_store_b32 off, v40, s33 offset:48 ; 4-byte Folded Spill
	s_mov_b32 exec_lo, s0
	v_writelane_b32 v40, s30, 0
	s_add_i32 s32, s32, 64
	v_writelane_b32 v40, s31, 1
	s_getpc_b64 s[0:1]
	s_add_u32 s0, s0, __const.__assert_fail.fmt@rel32@lo+4
	s_addc_u32 s1, s1, __const.__assert_fail.fmt@rel32@hi+12
	s_getpc_b64 s[2:3]
	s_add_u32 s2, s2, __const.__assert_fail.fmt@rel32@lo+20
	s_addc_u32 s3, s3, __const.__assert_fail.fmt@rel32@hi+28
	v_mbcnt_lo_u32_b32 v48, -1, 0
	s_clause 0x1
	s_load_b128 s[4:7], s[0:1], 0x0
	s_load_b128 s[12:15], s[2:3], 0x0
	s_load_b64 s[2:3], s[8:9], 0x50
	v_dual_mov_b32 v9, v1 :: v_dual_mov_b32 v8, v0
	v_mov_b32_e32 v18, 0x73256020
	v_readfirstlane_b32 s0, v48
	v_dual_mov_b32 v0, 0 :: v_dual_mov_b32 v7, v4
	v_dual_mov_b32 v6, v3 :: v_dual_mov_b32 v3, 0
	v_mov_b32_e32 v4, 0xa2e
	v_mov_b32_e32 v19, 0x61662027
	v_dual_mov_b32 v20, 0x64656c69 :: v_dual_mov_b32 v1, 0
	v_cmp_eq_u32_e64 s0, s0, v48
	s_waitcnt lgkmcnt(0)
	v_dual_mov_b32 v13, s7 :: v_dual_mov_b32 v12, s6
	v_dual_mov_b32 v11, s5 :: v_dual_mov_b32 v10, s4
	;; [unrolled: 1-line block ×4, first 2 shown]
	s_clause 0x4
	scratch_store_b128 off, v[10:13], s33
	scratch_store_b128 off, v[14:17], s33 offset:16
	scratch_store_b8 off, v3, s33 offset:46
	scratch_store_b16 off, v4, s33 offset:44
	scratch_store_b96 off, v[18:20], s33 offset:32
	s_and_saveexec_b32 s1, s0
	s_cbranch_execz .LBB1_6
; %bb.1:
	global_load_b64 v[12:13], v3, s[2:3] offset:24 glc
	s_waitcnt vmcnt(0)
	buffer_gl1_inv
	buffer_gl0_inv
	s_clause 0x1
	global_load_b64 v[0:1], v3, s[2:3] offset:40
	global_load_b64 v[4:5], v3, s[2:3]
	s_mov_b32 s4, exec_lo
	s_waitcnt vmcnt(1)
	v_and_b32_e32 v1, v1, v13
	v_and_b32_e32 v0, v0, v12
	s_delay_alu instid0(VALU_DEP_2) | instskip(NEXT) | instid1(VALU_DEP_2)
	v_mul_lo_u32 v1, v1, 24
	v_mul_hi_u32 v10, v0, 24
	v_mul_lo_u32 v0, v0, 24
	s_delay_alu instid0(VALU_DEP_2) | instskip(SKIP_1) | instid1(VALU_DEP_2)
	v_add_nc_u32_e32 v1, v10, v1
	s_waitcnt vmcnt(0)
	v_add_co_u32 v0, vcc_lo, v4, v0
	s_delay_alu instid0(VALU_DEP_2)
	v_add_co_ci_u32_e32 v1, vcc_lo, v5, v1, vcc_lo
	global_load_b64 v[10:11], v[0:1], off glc
	s_waitcnt vmcnt(0)
	global_atomic_cmpswap_b64 v[0:1], v3, v[10:13], s[2:3] offset:24 glc
	s_waitcnt vmcnt(0)
	buffer_gl1_inv
	buffer_gl0_inv
	v_cmpx_ne_u64_e64 v[0:1], v[12:13]
	s_cbranch_execz .LBB1_5
; %bb.2:
	s_mov_b32 s5, 0
	.p2align	6
.LBB1_3:                                ; =>This Inner Loop Header: Depth=1
	s_sleep 1
	s_clause 0x1
	global_load_b64 v[4:5], v3, s[2:3] offset:40
	global_load_b64 v[10:11], v3, s[2:3]
	v_dual_mov_b32 v13, v1 :: v_dual_mov_b32 v12, v0
	s_waitcnt vmcnt(1)
	s_delay_alu instid0(VALU_DEP_1) | instskip(SKIP_1) | instid1(VALU_DEP_1)
	v_and_b32_e32 v4, v4, v12
	s_waitcnt vmcnt(0)
	v_mad_u64_u32 v[0:1], null, v4, 24, v[10:11]
	v_and_b32_e32 v10, v5, v13
	s_delay_alu instid0(VALU_DEP_1) | instskip(NEXT) | instid1(VALU_DEP_1)
	v_mad_u64_u32 v[4:5], null, v10, 24, v[1:2]
	v_mov_b32_e32 v1, v4
	global_load_b64 v[10:11], v[0:1], off glc
	s_waitcnt vmcnt(0)
	global_atomic_cmpswap_b64 v[0:1], v3, v[10:13], s[2:3] offset:24 glc
	s_waitcnt vmcnt(0)
	buffer_gl1_inv
	buffer_gl0_inv
	v_cmp_eq_u64_e32 vcc_lo, v[0:1], v[12:13]
	s_or_b32 s5, vcc_lo, s5
	s_delay_alu instid0(SALU_CYCLE_1)
	s_and_not1_b32 exec_lo, exec_lo, s5
	s_cbranch_execnz .LBB1_3
; %bb.4:
	s_or_b32 exec_lo, exec_lo, s5
.LBB1_5:
	s_delay_alu instid0(SALU_CYCLE_1)
	s_or_b32 exec_lo, exec_lo, s4
.LBB1_6:
	s_delay_alu instid0(SALU_CYCLE_1)
	s_or_b32 exec_lo, exec_lo, s1
	s_clause 0x1
	global_load_b64 v[4:5], v3, s[2:3] offset:40
	global_load_b128 v[14:17], v3, s[2:3]
	v_readfirstlane_b32 s4, v0
	v_readfirstlane_b32 s5, v1
	s_mov_b32 s1, exec_lo
	s_waitcnt vmcnt(1)
	v_readfirstlane_b32 s6, v4
	v_readfirstlane_b32 s7, v5
	s_delay_alu instid0(VALU_DEP_1) | instskip(NEXT) | instid1(SALU_CYCLE_1)
	s_and_b64 s[6:7], s[4:5], s[6:7]
	s_mul_i32 s10, s7, 24
	s_mul_hi_u32 s11, s6, 24
	s_mul_i32 s12, s6, 24
	s_add_i32 s11, s11, s10
	s_waitcnt vmcnt(0)
	v_add_co_u32 v0, vcc_lo, v14, s12
	v_add_co_ci_u32_e32 v1, vcc_lo, s11, v15, vcc_lo
	s_and_saveexec_b32 s10, s0
	s_cbranch_execz .LBB1_8
; %bb.7:
	v_dual_mov_b32 v10, s1 :: v_dual_mov_b32 v11, 0
	v_dual_mov_b32 v12, 2 :: v_dual_mov_b32 v13, 1
	global_store_b128 v[0:1], v[10:13], off offset:8
.LBB1_8:
	s_or_b32 exec_lo, exec_lo, s10
	s_lshl_b64 s[6:7], s[6:7], 12
	v_dual_mov_b32 v12, 1 :: v_dual_lshlrev_b32 v39, 6, v48
	v_add_co_u32 v3, vcc_lo, v16, s6
	v_add_co_ci_u32_e32 v4, vcc_lo, s7, v17, vcc_lo
	v_dual_mov_b32 v11, 0 :: v_dual_mov_b32 v10, 33
	s_mov_b32 s12, 0
	s_delay_alu instid0(VALU_DEP_3)
	v_readfirstlane_b32 s6, v3
	s_mov_b32 s15, s12
	v_add_co_u32 v3, vcc_lo, v3, v39
	s_mov_b32 s13, s12
	s_mov_b32 s14, s12
	v_mov_b32_e32 v13, v11
	v_readfirstlane_b32 s7, v4
	v_dual_mov_b32 v19, s15 :: v_dual_mov_b32 v16, s12
	v_add_co_ci_u32_e32 v4, vcc_lo, 0, v4, vcc_lo
	v_dual_mov_b32 v18, s14 :: v_dual_mov_b32 v17, s13
	s_clause 0x3
	global_store_b128 v39, v[10:13], s[6:7]
	global_store_b128 v39, v[16:19], s[6:7] offset:16
	global_store_b128 v39, v[16:19], s[6:7] offset:32
	;; [unrolled: 1-line block ×3, first 2 shown]
	s_and_saveexec_b32 s1, s0
	s_cbranch_execz .LBB1_16
; %bb.9:
	s_clause 0x1
	global_load_b64 v[20:21], v11, s[2:3] offset:32 glc
	global_load_b64 v[12:13], v11, s[2:3] offset:40
	s_mov_b32 s6, exec_lo
	v_dual_mov_b32 v18, s4 :: v_dual_mov_b32 v19, s5
	s_waitcnt vmcnt(0)
	v_and_b32_e32 v5, s5, v13
	v_and_b32_e32 v10, s4, v12
	s_delay_alu instid0(VALU_DEP_2) | instskip(NEXT) | instid1(VALU_DEP_2)
	v_mul_lo_u32 v5, v5, 24
	v_mul_hi_u32 v12, v10, 24
	v_mul_lo_u32 v10, v10, 24
	s_delay_alu instid0(VALU_DEP_2) | instskip(NEXT) | instid1(VALU_DEP_2)
	v_add_nc_u32_e32 v5, v12, v5
	v_add_co_u32 v16, vcc_lo, v14, v10
	s_delay_alu instid0(VALU_DEP_2)
	v_add_co_ci_u32_e32 v17, vcc_lo, v15, v5, vcc_lo
	global_store_b64 v[16:17], v[20:21], off
	s_waitcnt_vscnt null, 0x0
	global_atomic_cmpswap_b64 v[14:15], v11, v[18:21], s[2:3] offset:32 glc
	s_waitcnt vmcnt(0)
	v_cmpx_ne_u64_e64 v[14:15], v[20:21]
	s_cbranch_execz .LBB1_12
; %bb.10:
	s_mov_b32 s7, 0
.LBB1_11:                               ; =>This Inner Loop Header: Depth=1
	v_dual_mov_b32 v12, s4 :: v_dual_mov_b32 v13, s5
	s_sleep 1
	global_store_b64 v[16:17], v[14:15], off
	s_waitcnt_vscnt null, 0x0
	global_atomic_cmpswap_b64 v[12:13], v11, v[12:15], s[2:3] offset:32 glc
	s_waitcnt vmcnt(0)
	v_cmp_eq_u64_e32 vcc_lo, v[12:13], v[14:15]
	v_dual_mov_b32 v15, v13 :: v_dual_mov_b32 v14, v12
	s_or_b32 s7, vcc_lo, s7
	s_delay_alu instid0(SALU_CYCLE_1)
	s_and_not1_b32 exec_lo, exec_lo, s7
	s_cbranch_execnz .LBB1_11
.LBB1_12:
	s_or_b32 exec_lo, exec_lo, s6
	v_mov_b32_e32 v13, 0
	s_mov_b32 s7, exec_lo
	s_mov_b32 s6, exec_lo
	v_mbcnt_lo_u32_b32 v5, s7, 0
	global_load_b64 v[10:11], v13, s[2:3] offset:16
	v_cmpx_eq_u32_e32 0, v5
	s_cbranch_execz .LBB1_14
; %bb.13:
	s_bcnt1_i32_b32 s7, s7
	s_delay_alu instid0(SALU_CYCLE_1)
	v_mov_b32_e32 v12, s7
	s_waitcnt vmcnt(0)
	global_atomic_add_u64 v[10:11], v[12:13], off offset:8
.LBB1_14:
	s_or_b32 exec_lo, exec_lo, s6
	s_waitcnt vmcnt(0)
	global_load_b64 v[12:13], v[10:11], off offset:16
	s_waitcnt vmcnt(0)
	v_cmp_eq_u64_e32 vcc_lo, 0, v[12:13]
	s_cbranch_vccnz .LBB1_16
; %bb.15:
	global_load_b32 v10, v[10:11], off offset:24
	v_mov_b32_e32 v11, 0
	s_waitcnt vmcnt(0)
	v_and_b32_e32 v5, 0xffffff, v10
	s_waitcnt_vscnt null, 0x0
	global_store_b64 v[12:13], v[10:11], off
	v_readfirstlane_b32 m0, v5
	s_sendmsg sendmsg(MSG_INTERRUPT)
.LBB1_16:
	s_or_b32 exec_lo, exec_lo, s1
	s_branch .LBB1_20
	.p2align	6
.LBB1_17:                               ;   in Loop: Header=BB1_20 Depth=1
	s_or_b32 exec_lo, exec_lo, s1
	s_delay_alu instid0(VALU_DEP_1) | instskip(NEXT) | instid1(VALU_DEP_1)
	v_readfirstlane_b32 s1, v5
	s_cmp_eq_u32 s1, 0
	s_cbranch_scc1 .LBB1_19
; %bb.18:                               ;   in Loop: Header=BB1_20 Depth=1
	s_sleep 1
	s_cbranch_execnz .LBB1_20
	s_branch .LBB1_22
	.p2align	6
.LBB1_19:
	s_branch .LBB1_22
.LBB1_20:                               ; =>This Inner Loop Header: Depth=1
	v_mov_b32_e32 v5, 1
	s_and_saveexec_b32 s1, s0
	s_cbranch_execz .LBB1_17
; %bb.21:                               ;   in Loop: Header=BB1_20 Depth=1
	global_load_b32 v5, v[0:1], off offset:20 glc
	s_waitcnt vmcnt(0)
	buffer_gl1_inv
	buffer_gl0_inv
	v_and_b32_e32 v5, 1, v5
	s_branch .LBB1_17
.LBB1_22:
	global_load_b64 v[14:15], v[3:4], off
	s_and_saveexec_b32 s1, s0
	s_cbranch_execz .LBB1_26
; %bb.23:
	v_mov_b32_e32 v3, 0
	s_clause 0x2
	global_load_b64 v[0:1], v3, s[2:3] offset:40
	global_load_b64 v[4:5], v3, s[2:3] offset:24 glc
	global_load_b64 v[12:13], v3, s[2:3]
	s_waitcnt vmcnt(2)
	v_add_co_u32 v16, vcc_lo, v0, 1
	v_add_co_ci_u32_e32 v17, vcc_lo, 0, v1, vcc_lo
	s_delay_alu instid0(VALU_DEP_2) | instskip(NEXT) | instid1(VALU_DEP_2)
	v_add_co_u32 v10, vcc_lo, v16, s4
	v_add_co_ci_u32_e32 v11, vcc_lo, s5, v17, vcc_lo
	s_delay_alu instid0(VALU_DEP_1) | instskip(SKIP_1) | instid1(VALU_DEP_1)
	v_cmp_eq_u64_e32 vcc_lo, 0, v[10:11]
	v_dual_cndmask_b32 v10, v10, v16 :: v_dual_cndmask_b32 v11, v11, v17
	v_and_b32_e32 v0, v10, v0
	s_delay_alu instid0(VALU_DEP_2) | instskip(NEXT) | instid1(VALU_DEP_2)
	v_and_b32_e32 v1, v11, v1
	v_mul_hi_u32 v16, v0, 24
	v_mul_lo_u32 v0, v0, 24
	s_waitcnt vmcnt(0)
	s_delay_alu instid0(VALU_DEP_1) | instskip(SKIP_2) | instid1(VALU_DEP_1)
	v_add_co_u32 v0, vcc_lo, v12, v0
	v_mov_b32_e32 v12, v4
	v_mul_lo_u32 v1, v1, 24
	v_add_nc_u32_e32 v1, v16, v1
	s_delay_alu instid0(VALU_DEP_1)
	v_add_co_ci_u32_e32 v1, vcc_lo, v13, v1, vcc_lo
	v_mov_b32_e32 v13, v5
	global_store_b64 v[0:1], v[4:5], off
	s_waitcnt_vscnt null, 0x0
	global_atomic_cmpswap_b64 v[12:13], v3, v[10:13], s[2:3] offset:24 glc
	s_waitcnt vmcnt(0)
	v_cmp_ne_u64_e32 vcc_lo, v[12:13], v[4:5]
	s_and_b32 exec_lo, exec_lo, vcc_lo
	s_cbranch_execz .LBB1_26
; %bb.24:
	s_mov_b32 s0, 0
.LBB1_25:                               ; =>This Inner Loop Header: Depth=1
	s_sleep 1
	global_store_b64 v[0:1], v[12:13], off
	s_waitcnt_vscnt null, 0x0
	global_atomic_cmpswap_b64 v[4:5], v3, v[10:13], s[2:3] offset:24 glc
	s_waitcnt vmcnt(0)
	v_cmp_eq_u64_e32 vcc_lo, v[4:5], v[12:13]
	v_dual_mov_b32 v13, v5 :: v_dual_mov_b32 v12, v4
	s_or_b32 s0, vcc_lo, s0
	s_delay_alu instid0(SALU_CYCLE_1)
	s_and_not1_b32 exec_lo, exec_lo, s0
	s_cbranch_execnz .LBB1_25
.LBB1_26:
	s_or_b32 exec_lo, exec_lo, s1
	v_mov_b32_e32 v1, s33
	s_mov_b32 s0, 0
.LBB1_27:                               ; =>This Inner Loop Header: Depth=1
	scratch_load_u8 v3, v1, off
	v_add_nc_u32_e32 v0, 1, v1
	s_delay_alu instid0(VALU_DEP_1) | instskip(SKIP_3) | instid1(SALU_CYCLE_1)
	v_mov_b32_e32 v1, v0
	s_waitcnt vmcnt(0)
	v_cmp_eq_u16_e32 vcc_lo, 0, v3
	s_or_b32 s0, vcc_lo, s0
	s_and_not1_b32 exec_lo, exec_lo, s0
	s_cbranch_execnz .LBB1_27
; %bb.28:
	s_or_b32 exec_lo, exec_lo, s0
	v_cmp_ne_u32_e64 s0, -1, s33
	s_delay_alu instid0(VALU_DEP_1)
	s_and_b32 vcc_lo, exec_lo, s0
	s_cbranch_vccz .LBB1_113
; %bb.29:
	v_subrev_nc_u32_e32 v0, s33, v0
	v_dual_mov_b32 v38, s33 :: v_dual_and_b32 v5, 2, v14
	v_dual_mov_b32 v17, 0 :: v_dual_and_b32 v10, -3, v14
	v_dual_mov_b32 v11, v15 :: v_dual_mov_b32 v18, 2
	s_delay_alu instid0(VALU_DEP_4)
	v_ashrrev_i32_e32 v1, 31, v0
	v_mov_b32_e32 v19, 1
	s_mov_b32 s11, 0
	s_mov_b32 s10, 0
	s_branch .LBB1_31
.LBB1_30:                               ;   in Loop: Header=BB1_31 Depth=1
	s_or_b32 exec_lo, exec_lo, s1
	v_sub_co_u32 v0, vcc_lo, v0, v3
	v_sub_co_ci_u32_e32 v1, vcc_lo, v1, v4, vcc_lo
	v_add_nc_u32_e32 v38, v38, v3
	s_delay_alu instid0(VALU_DEP_2) | instskip(SKIP_1) | instid1(SALU_CYCLE_1)
	v_cmp_eq_u64_e32 vcc_lo, 0, v[0:1]
	s_or_b32 s10, vcc_lo, s10
	s_and_not1_b32 exec_lo, exec_lo, s10
	s_cbranch_execz .LBB1_114
.LBB1_31:                               ; =>This Loop Header: Depth=1
                                        ;     Child Loop BB1_34 Depth 2
                                        ;     Child Loop BB1_42 Depth 2
	;; [unrolled: 1-line block ×11, first 2 shown]
	v_cmp_gt_u64_e32 vcc_lo, 56, v[0:1]
	s_mov_b32 s4, exec_lo
                                        ; implicit-def: $vgpr12_vgpr13
                                        ; implicit-def: $sgpr1
	v_dual_cndmask_b32 v4, 0, v1 :: v_dual_cndmask_b32 v3, 56, v0
	v_cmpx_gt_u64_e32 8, v[0:1]
	s_xor_b32 s4, exec_lo, s4
	s_cbranch_execz .LBB1_37
; %bb.32:                               ;   in Loop: Header=BB1_31 Depth=1
	s_waitcnt vmcnt(0)
	v_mov_b32_e32 v12, 0
	v_mov_b32_e32 v13, 0
	s_mov_b64 s[0:1], 0
	s_mov_b32 s5, exec_lo
	v_cmpx_ne_u64_e32 0, v[0:1]
	s_cbranch_execz .LBB1_36
; %bb.33:                               ;   in Loop: Header=BB1_31 Depth=1
	v_lshlrev_b64 v[20:21], 3, v[3:4]
	v_mov_b32_e32 v12, 0
	v_dual_mov_b32 v13, 0 :: v_dual_mov_b32 v16, v38
	s_mov_b32 s6, 0
.LBB1_34:                               ;   Parent Loop BB1_31 Depth=1
                                        ; =>  This Inner Loop Header: Depth=2
	scratch_load_u8 v21, v16, off
	v_mov_b32_e32 v22, s11
	v_add_nc_u32_e32 v16, 1, v16
	s_waitcnt vmcnt(0)
	v_and_b32_e32 v21, 0xffff, v21
	s_delay_alu instid0(VALU_DEP_1) | instskip(SKIP_3) | instid1(VALU_DEP_2)
	v_lshlrev_b64 v[21:22], s0, v[21:22]
	s_add_u32 s0, s0, 8
	s_addc_u32 s1, s1, 0
	v_cmp_eq_u32_e32 vcc_lo, s0, v20
	v_or_b32_e32 v13, v22, v13
	s_delay_alu instid0(VALU_DEP_3) | instskip(SKIP_1) | instid1(SALU_CYCLE_1)
	v_or_b32_e32 v12, v21, v12
	s_or_b32 s6, vcc_lo, s6
	s_and_not1_b32 exec_lo, exec_lo, s6
	s_cbranch_execnz .LBB1_34
; %bb.35:                               ;   in Loop: Header=BB1_31 Depth=1
	s_or_b32 exec_lo, exec_lo, s6
.LBB1_36:                               ;   in Loop: Header=BB1_31 Depth=1
	s_delay_alu instid0(SALU_CYCLE_1)
	s_or_b32 exec_lo, exec_lo, s5
	s_mov_b32 s1, 0
.LBB1_37:                               ;   in Loop: Header=BB1_31 Depth=1
	s_or_saveexec_b32 s0, s4
	v_mov_b32_e32 v22, s1
	v_mov_b32_e32 v16, v38
	s_xor_b32 exec_lo, exec_lo, s0
	s_cbranch_execz .LBB1_39
; %bb.38:                               ;   in Loop: Header=BB1_31 Depth=1
	scratch_load_b64 v[12:13], v38, off
	v_add_nc_u32_e32 v22, -8, v3
	s_waitcnt vmcnt(0)
	v_and_b32_e32 v16, 0xff, v13
	v_and_b32_e32 v20, 0xff00, v13
	;; [unrolled: 1-line block ×4, first 2 shown]
	v_or3_b32 v12, v12, 0, 0
	s_delay_alu instid0(VALU_DEP_4) | instskip(NEXT) | instid1(VALU_DEP_1)
	v_or_b32_e32 v16, v16, v20
	v_or3_b32 v13, v16, v21, v13
	v_add_nc_u32_e32 v16, 8, v38
.LBB1_39:                               ;   in Loop: Header=BB1_31 Depth=1
	s_or_b32 exec_lo, exec_lo, s0
                                        ; implicit-def: $vgpr20_vgpr21
                                        ; implicit-def: $sgpr1
	s_delay_alu instid0(SALU_CYCLE_1)
	s_mov_b32 s0, exec_lo
	v_cmpx_gt_u32_e32 8, v22
	s_xor_b32 s4, exec_lo, s0
	s_cbranch_execz .LBB1_45
; %bb.40:                               ;   in Loop: Header=BB1_31 Depth=1
	v_mov_b32_e32 v20, 0
	v_mov_b32_e32 v21, 0
	s_mov_b32 s5, exec_lo
	v_cmpx_ne_u32_e32 0, v22
	s_cbranch_execz .LBB1_44
; %bb.41:                               ;   in Loop: Header=BB1_31 Depth=1
	v_mov_b32_e32 v20, 0
	v_mov_b32_e32 v21, 0
	s_mov_b64 s[0:1], 0
	s_mov_b32 s6, 0
	s_mov_b32 s7, 0
	.p2align	6
.LBB1_42:                               ;   Parent Loop BB1_31 Depth=1
                                        ; =>  This Inner Loop Header: Depth=2
	s_delay_alu instid0(SALU_CYCLE_1) | instskip(SKIP_1) | instid1(SALU_CYCLE_1)
	v_dual_mov_b32 v24, s11 :: v_dual_add_nc_u32 v23, s7, v16
	s_add_i32 s7, s7, 1
	v_cmp_eq_u32_e32 vcc_lo, s7, v22
	scratch_load_u8 v23, v23, off
	s_waitcnt vmcnt(0)
	v_and_b32_e32 v23, 0xffff, v23
	s_delay_alu instid0(VALU_DEP_1) | instskip(SKIP_3) | instid1(VALU_DEP_1)
	v_lshlrev_b64 v[23:24], s0, v[23:24]
	s_add_u32 s0, s0, 8
	s_addc_u32 s1, s1, 0
	s_or_b32 s6, vcc_lo, s6
	v_or_b32_e32 v21, v24, v21
	s_delay_alu instid0(VALU_DEP_2)
	v_or_b32_e32 v20, v23, v20
	s_and_not1_b32 exec_lo, exec_lo, s6
	s_cbranch_execnz .LBB1_42
; %bb.43:                               ;   in Loop: Header=BB1_31 Depth=1
	s_or_b32 exec_lo, exec_lo, s6
.LBB1_44:                               ;   in Loop: Header=BB1_31 Depth=1
	s_delay_alu instid0(SALU_CYCLE_1)
	s_or_b32 exec_lo, exec_lo, s5
	s_mov_b32 s1, 0
                                        ; implicit-def: $vgpr22
.LBB1_45:                               ;   in Loop: Header=BB1_31 Depth=1
	s_or_saveexec_b32 s0, s4
	v_mov_b32_e32 v24, s1
	s_xor_b32 exec_lo, exec_lo, s0
	s_cbranch_execz .LBB1_47
; %bb.46:                               ;   in Loop: Header=BB1_31 Depth=1
	scratch_load_b64 v[20:21], v16, off
	v_add_nc_u32_e32 v16, 8, v16
	s_waitcnt vmcnt(0)
	v_and_b32_e32 v23, 0xff, v21
	v_and_b32_e32 v24, 0xff00, v21
	v_and_b32_e32 v25, 0xff0000, v21
	v_and_b32_e32 v21, 0xff000000, v21
	v_or3_b32 v20, v20, 0, 0
	s_delay_alu instid0(VALU_DEP_4) | instskip(SKIP_1) | instid1(VALU_DEP_2)
	v_or_b32_e32 v23, v23, v24
	v_add_nc_u32_e32 v24, -8, v22
	v_or3_b32 v21, v23, v25, v21
.LBB1_47:                               ;   in Loop: Header=BB1_31 Depth=1
	s_or_b32 exec_lo, exec_lo, s0
                                        ; implicit-def: $sgpr1
	s_delay_alu instid0(SALU_CYCLE_1) | instskip(NEXT) | instid1(VALU_DEP_1)
	s_mov_b32 s0, exec_lo
	v_cmpx_gt_u32_e32 8, v24
	s_xor_b32 s4, exec_lo, s0
	s_cbranch_execz .LBB1_53
; %bb.48:                               ;   in Loop: Header=BB1_31 Depth=1
	v_mov_b32_e32 v22, 0
	v_mov_b32_e32 v23, 0
	s_mov_b32 s5, exec_lo
	v_cmpx_ne_u32_e32 0, v24
	s_cbranch_execz .LBB1_52
; %bb.49:                               ;   in Loop: Header=BB1_31 Depth=1
	v_mov_b32_e32 v22, 0
	v_mov_b32_e32 v23, 0
	s_mov_b64 s[0:1], 0
	s_mov_b32 s6, 0
	s_mov_b32 s7, 0
	.p2align	6
.LBB1_50:                               ;   Parent Loop BB1_31 Depth=1
                                        ; =>  This Inner Loop Header: Depth=2
	s_delay_alu instid0(SALU_CYCLE_1) | instskip(SKIP_1) | instid1(SALU_CYCLE_1)
	v_dual_mov_b32 v26, s11 :: v_dual_add_nc_u32 v25, s7, v16
	s_add_i32 s7, s7, 1
	v_cmp_eq_u32_e32 vcc_lo, s7, v24
	scratch_load_u8 v25, v25, off
	s_waitcnt vmcnt(0)
	v_and_b32_e32 v25, 0xffff, v25
	s_delay_alu instid0(VALU_DEP_1) | instskip(SKIP_3) | instid1(VALU_DEP_1)
	v_lshlrev_b64 v[25:26], s0, v[25:26]
	s_add_u32 s0, s0, 8
	s_addc_u32 s1, s1, 0
	s_or_b32 s6, vcc_lo, s6
	v_or_b32_e32 v23, v26, v23
	s_delay_alu instid0(VALU_DEP_2)
	v_or_b32_e32 v22, v25, v22
	s_and_not1_b32 exec_lo, exec_lo, s6
	s_cbranch_execnz .LBB1_50
; %bb.51:                               ;   in Loop: Header=BB1_31 Depth=1
	s_or_b32 exec_lo, exec_lo, s6
.LBB1_52:                               ;   in Loop: Header=BB1_31 Depth=1
	s_delay_alu instid0(SALU_CYCLE_1)
	s_or_b32 exec_lo, exec_lo, s5
	s_mov_b32 s1, 0
                                        ; implicit-def: $vgpr24
.LBB1_53:                               ;   in Loop: Header=BB1_31 Depth=1
	s_or_saveexec_b32 s0, s4
	v_mov_b32_e32 v26, s1
	s_xor_b32 exec_lo, exec_lo, s0
	s_cbranch_execz .LBB1_55
; %bb.54:                               ;   in Loop: Header=BB1_31 Depth=1
	scratch_load_b64 v[22:23], v16, off
	v_add_nc_u32_e32 v16, 8, v16
	s_waitcnt vmcnt(0)
	v_and_b32_e32 v25, 0xff, v23
	v_and_b32_e32 v26, 0xff00, v23
	;; [unrolled: 1-line block ×4, first 2 shown]
	v_or3_b32 v22, v22, 0, 0
	s_delay_alu instid0(VALU_DEP_4) | instskip(SKIP_1) | instid1(VALU_DEP_2)
	v_or_b32_e32 v25, v25, v26
	v_add_nc_u32_e32 v26, -8, v24
	v_or3_b32 v23, v25, v27, v23
.LBB1_55:                               ;   in Loop: Header=BB1_31 Depth=1
	s_or_b32 exec_lo, exec_lo, s0
                                        ; implicit-def: $vgpr24_vgpr25
                                        ; implicit-def: $sgpr1
	s_delay_alu instid0(SALU_CYCLE_1) | instskip(NEXT) | instid1(VALU_DEP_1)
	s_mov_b32 s0, exec_lo
	v_cmpx_gt_u32_e32 8, v26
	s_xor_b32 s4, exec_lo, s0
	s_cbranch_execz .LBB1_61
; %bb.56:                               ;   in Loop: Header=BB1_31 Depth=1
	v_mov_b32_e32 v24, 0
	v_mov_b32_e32 v25, 0
	s_mov_b32 s5, exec_lo
	v_cmpx_ne_u32_e32 0, v26
	s_cbranch_execz .LBB1_60
; %bb.57:                               ;   in Loop: Header=BB1_31 Depth=1
	v_mov_b32_e32 v24, 0
	v_mov_b32_e32 v25, 0
	s_mov_b64 s[0:1], 0
	s_mov_b32 s6, 0
	s_mov_b32 s7, 0
	.p2align	6
.LBB1_58:                               ;   Parent Loop BB1_31 Depth=1
                                        ; =>  This Inner Loop Header: Depth=2
	s_delay_alu instid0(SALU_CYCLE_1) | instskip(SKIP_1) | instid1(SALU_CYCLE_1)
	v_dual_mov_b32 v28, s11 :: v_dual_add_nc_u32 v27, s7, v16
	s_add_i32 s7, s7, 1
	v_cmp_eq_u32_e32 vcc_lo, s7, v26
	scratch_load_u8 v27, v27, off
	s_waitcnt vmcnt(0)
	v_and_b32_e32 v27, 0xffff, v27
	s_delay_alu instid0(VALU_DEP_1) | instskip(SKIP_3) | instid1(VALU_DEP_1)
	v_lshlrev_b64 v[27:28], s0, v[27:28]
	s_add_u32 s0, s0, 8
	s_addc_u32 s1, s1, 0
	s_or_b32 s6, vcc_lo, s6
	v_or_b32_e32 v25, v28, v25
	s_delay_alu instid0(VALU_DEP_2)
	v_or_b32_e32 v24, v27, v24
	s_and_not1_b32 exec_lo, exec_lo, s6
	s_cbranch_execnz .LBB1_58
; %bb.59:                               ;   in Loop: Header=BB1_31 Depth=1
	s_or_b32 exec_lo, exec_lo, s6
.LBB1_60:                               ;   in Loop: Header=BB1_31 Depth=1
	s_delay_alu instid0(SALU_CYCLE_1)
	s_or_b32 exec_lo, exec_lo, s5
	s_mov_b32 s1, 0
                                        ; implicit-def: $vgpr26
.LBB1_61:                               ;   in Loop: Header=BB1_31 Depth=1
	s_or_saveexec_b32 s0, s4
	v_mov_b32_e32 v28, s1
	s_xor_b32 exec_lo, exec_lo, s0
	s_cbranch_execz .LBB1_63
; %bb.62:                               ;   in Loop: Header=BB1_31 Depth=1
	scratch_load_b64 v[24:25], v16, off
	v_add_nc_u32_e32 v16, 8, v16
	s_waitcnt vmcnt(0)
	v_and_b32_e32 v27, 0xff, v25
	v_and_b32_e32 v28, 0xff00, v25
	;; [unrolled: 1-line block ×4, first 2 shown]
	v_or3_b32 v24, v24, 0, 0
	s_delay_alu instid0(VALU_DEP_4) | instskip(SKIP_1) | instid1(VALU_DEP_2)
	v_or_b32_e32 v27, v27, v28
	v_add_nc_u32_e32 v28, -8, v26
	v_or3_b32 v25, v27, v29, v25
.LBB1_63:                               ;   in Loop: Header=BB1_31 Depth=1
	s_or_b32 exec_lo, exec_lo, s0
                                        ; implicit-def: $sgpr1
	s_delay_alu instid0(SALU_CYCLE_1) | instskip(NEXT) | instid1(VALU_DEP_1)
	s_mov_b32 s0, exec_lo
	v_cmpx_gt_u32_e32 8, v28
	s_xor_b32 s4, exec_lo, s0
	s_cbranch_execz .LBB1_69
; %bb.64:                               ;   in Loop: Header=BB1_31 Depth=1
	v_mov_b32_e32 v26, 0
	v_mov_b32_e32 v27, 0
	s_mov_b32 s5, exec_lo
	v_cmpx_ne_u32_e32 0, v28
	s_cbranch_execz .LBB1_68
; %bb.65:                               ;   in Loop: Header=BB1_31 Depth=1
	v_mov_b32_e32 v26, 0
	v_mov_b32_e32 v27, 0
	s_mov_b64 s[0:1], 0
	s_mov_b32 s6, 0
	s_mov_b32 s7, 0
	.p2align	6
.LBB1_66:                               ;   Parent Loop BB1_31 Depth=1
                                        ; =>  This Inner Loop Header: Depth=2
	s_delay_alu instid0(SALU_CYCLE_1) | instskip(SKIP_1) | instid1(SALU_CYCLE_1)
	v_dual_mov_b32 v30, s11 :: v_dual_add_nc_u32 v29, s7, v16
	s_add_i32 s7, s7, 1
	v_cmp_eq_u32_e32 vcc_lo, s7, v28
	scratch_load_u8 v29, v29, off
	s_waitcnt vmcnt(0)
	v_and_b32_e32 v29, 0xffff, v29
	s_delay_alu instid0(VALU_DEP_1) | instskip(SKIP_3) | instid1(VALU_DEP_1)
	v_lshlrev_b64 v[29:30], s0, v[29:30]
	s_add_u32 s0, s0, 8
	s_addc_u32 s1, s1, 0
	s_or_b32 s6, vcc_lo, s6
	v_or_b32_e32 v27, v30, v27
	s_delay_alu instid0(VALU_DEP_2)
	v_or_b32_e32 v26, v29, v26
	s_and_not1_b32 exec_lo, exec_lo, s6
	s_cbranch_execnz .LBB1_66
; %bb.67:                               ;   in Loop: Header=BB1_31 Depth=1
	s_or_b32 exec_lo, exec_lo, s6
.LBB1_68:                               ;   in Loop: Header=BB1_31 Depth=1
	s_delay_alu instid0(SALU_CYCLE_1)
	s_or_b32 exec_lo, exec_lo, s5
	s_mov_b32 s1, 0
                                        ; implicit-def: $vgpr28
.LBB1_69:                               ;   in Loop: Header=BB1_31 Depth=1
	s_or_saveexec_b32 s0, s4
	v_mov_b32_e32 v30, s1
	s_xor_b32 exec_lo, exec_lo, s0
	s_cbranch_execz .LBB1_71
; %bb.70:                               ;   in Loop: Header=BB1_31 Depth=1
	scratch_load_b64 v[26:27], v16, off
	v_add_nc_u32_e32 v16, 8, v16
	s_waitcnt vmcnt(0)
	v_and_b32_e32 v29, 0xff, v27
	v_and_b32_e32 v30, 0xff00, v27
	;; [unrolled: 1-line block ×4, first 2 shown]
	v_or3_b32 v26, v26, 0, 0
	s_delay_alu instid0(VALU_DEP_4) | instskip(SKIP_1) | instid1(VALU_DEP_2)
	v_or_b32_e32 v29, v29, v30
	v_add_nc_u32_e32 v30, -8, v28
	v_or3_b32 v27, v29, v31, v27
.LBB1_71:                               ;   in Loop: Header=BB1_31 Depth=1
	s_or_b32 exec_lo, exec_lo, s0
                                        ; implicit-def: $vgpr28_vgpr29
                                        ; implicit-def: $sgpr1
	s_delay_alu instid0(SALU_CYCLE_1) | instskip(NEXT) | instid1(VALU_DEP_1)
	s_mov_b32 s0, exec_lo
	v_cmpx_gt_u32_e32 8, v30
	s_xor_b32 s4, exec_lo, s0
	s_cbranch_execz .LBB1_77
; %bb.72:                               ;   in Loop: Header=BB1_31 Depth=1
	v_mov_b32_e32 v28, 0
	v_mov_b32_e32 v29, 0
	s_mov_b32 s5, exec_lo
	v_cmpx_ne_u32_e32 0, v30
	s_cbranch_execz .LBB1_76
; %bb.73:                               ;   in Loop: Header=BB1_31 Depth=1
	v_mov_b32_e32 v28, 0
	v_mov_b32_e32 v29, 0
	s_mov_b64 s[0:1], 0
	s_mov_b32 s6, 0
	s_mov_b32 s7, 0
	.p2align	6
.LBB1_74:                               ;   Parent Loop BB1_31 Depth=1
                                        ; =>  This Inner Loop Header: Depth=2
	s_delay_alu instid0(SALU_CYCLE_1) | instskip(SKIP_1) | instid1(SALU_CYCLE_1)
	v_dual_mov_b32 v32, s11 :: v_dual_add_nc_u32 v31, s7, v16
	s_add_i32 s7, s7, 1
	v_cmp_eq_u32_e32 vcc_lo, s7, v30
	scratch_load_u8 v31, v31, off
	s_waitcnt vmcnt(0)
	v_and_b32_e32 v31, 0xffff, v31
	s_delay_alu instid0(VALU_DEP_1) | instskip(SKIP_3) | instid1(VALU_DEP_1)
	v_lshlrev_b64 v[31:32], s0, v[31:32]
	s_add_u32 s0, s0, 8
	s_addc_u32 s1, s1, 0
	s_or_b32 s6, vcc_lo, s6
	v_or_b32_e32 v29, v32, v29
	s_delay_alu instid0(VALU_DEP_2)
	v_or_b32_e32 v28, v31, v28
	s_and_not1_b32 exec_lo, exec_lo, s6
	s_cbranch_execnz .LBB1_74
; %bb.75:                               ;   in Loop: Header=BB1_31 Depth=1
	s_or_b32 exec_lo, exec_lo, s6
.LBB1_76:                               ;   in Loop: Header=BB1_31 Depth=1
	s_delay_alu instid0(SALU_CYCLE_1)
	s_or_b32 exec_lo, exec_lo, s5
	s_mov_b32 s1, 0
                                        ; implicit-def: $vgpr30
.LBB1_77:                               ;   in Loop: Header=BB1_31 Depth=1
	s_or_saveexec_b32 s0, s4
	v_mov_b32_e32 v32, s1
	s_xor_b32 exec_lo, exec_lo, s0
	s_cbranch_execz .LBB1_79
; %bb.78:                               ;   in Loop: Header=BB1_31 Depth=1
	scratch_load_b64 v[28:29], v16, off
	v_add_nc_u32_e32 v16, 8, v16
	s_waitcnt vmcnt(0)
	v_and_b32_e32 v31, 0xff, v29
	v_and_b32_e32 v32, 0xff00, v29
	v_and_b32_e32 v33, 0xff0000, v29
	v_and_b32_e32 v29, 0xff000000, v29
	v_or3_b32 v28, v28, 0, 0
	s_delay_alu instid0(VALU_DEP_4) | instskip(SKIP_1) | instid1(VALU_DEP_2)
	v_or_b32_e32 v31, v31, v32
	v_add_nc_u32_e32 v32, -8, v30
	v_or3_b32 v29, v31, v33, v29
.LBB1_79:                               ;   in Loop: Header=BB1_31 Depth=1
	s_or_b32 exec_lo, exec_lo, s0
	s_delay_alu instid0(SALU_CYCLE_1) | instskip(NEXT) | instid1(VALU_DEP_1)
	s_mov_b32 s0, exec_lo
	v_cmpx_gt_u32_e32 8, v32
	s_xor_b32 s4, exec_lo, s0
	s_cbranch_execz .LBB1_85
; %bb.80:                               ;   in Loop: Header=BB1_31 Depth=1
	v_mov_b32_e32 v30, 0
	v_mov_b32_e32 v31, 0
	s_mov_b32 s5, exec_lo
	v_cmpx_ne_u32_e32 0, v32
	s_cbranch_execz .LBB1_84
; %bb.81:                               ;   in Loop: Header=BB1_31 Depth=1
	v_mov_b32_e32 v30, 0
	v_mov_b32_e32 v31, 0
	s_mov_b64 s[0:1], 0
	s_mov_b32 s6, 0
	.p2align	6
.LBB1_82:                               ;   Parent Loop BB1_31 Depth=1
                                        ; =>  This Inner Loop Header: Depth=2
	scratch_load_u8 v33, v16, off
	v_mov_b32_e32 v34, s11
	v_add_nc_u32_e32 v32, -1, v32
	v_add_nc_u32_e32 v16, 1, v16
	s_delay_alu instid0(VALU_DEP_2) | instskip(SKIP_2) | instid1(VALU_DEP_1)
	v_cmp_eq_u32_e32 vcc_lo, 0, v32
	s_waitcnt vmcnt(0)
	v_and_b32_e32 v33, 0xffff, v33
	v_lshlrev_b64 v[33:34], s0, v[33:34]
	s_add_u32 s0, s0, 8
	s_addc_u32 s1, s1, 0
	s_or_b32 s6, vcc_lo, s6
	s_delay_alu instid0(VALU_DEP_1) | instskip(NEXT) | instid1(VALU_DEP_2)
	v_or_b32_e32 v31, v34, v31
	v_or_b32_e32 v30, v33, v30
	s_and_not1_b32 exec_lo, exec_lo, s6
	s_cbranch_execnz .LBB1_82
; %bb.83:                               ;   in Loop: Header=BB1_31 Depth=1
	s_or_b32 exec_lo, exec_lo, s6
.LBB1_84:                               ;   in Loop: Header=BB1_31 Depth=1
	s_delay_alu instid0(SALU_CYCLE_1)
	s_or_b32 exec_lo, exec_lo, s5
                                        ; implicit-def: $vgpr16
.LBB1_85:                               ;   in Loop: Header=BB1_31 Depth=1
	s_and_not1_saveexec_b32 s0, s4
	s_cbranch_execz .LBB1_87
; %bb.86:                               ;   in Loop: Header=BB1_31 Depth=1
	scratch_load_b64 v[30:31], v16, off
	s_waitcnt vmcnt(0)
	v_and_b32_e32 v16, 0xff, v31
	v_and_b32_e32 v32, 0xff00, v31
	;; [unrolled: 1-line block ×4, first 2 shown]
	v_or3_b32 v30, v30, 0, 0
	s_delay_alu instid0(VALU_DEP_4) | instskip(NEXT) | instid1(VALU_DEP_1)
	v_or_b32_e32 v16, v16, v32
	v_or3_b32 v31, v16, v33, v31
.LBB1_87:                               ;   in Loop: Header=BB1_31 Depth=1
	s_or_b32 exec_lo, exec_lo, s0
	v_readfirstlane_b32 s0, v48
	v_mov_b32_e32 v36, 0
	v_mov_b32_e32 v37, 0
	s_delay_alu instid0(VALU_DEP_3) | instskip(NEXT) | instid1(VALU_DEP_1)
	v_cmp_eq_u32_e64 s0, s0, v48
	s_and_saveexec_b32 s1, s0
	s_cbranch_execz .LBB1_93
; %bb.88:                               ;   in Loop: Header=BB1_31 Depth=1
	global_load_b64 v[34:35], v17, s[2:3] offset:24 glc
	s_waitcnt vmcnt(0)
	buffer_gl1_inv
	buffer_gl0_inv
	s_clause 0x1
	global_load_b64 v[32:33], v17, s[2:3] offset:40
	global_load_b64 v[36:37], v17, s[2:3]
	s_mov_b32 s4, exec_lo
	s_waitcnt vmcnt(1)
	v_and_b32_e32 v16, v33, v35
	v_and_b32_e32 v32, v32, v34
	s_delay_alu instid0(VALU_DEP_2) | instskip(NEXT) | instid1(VALU_DEP_2)
	v_mul_lo_u32 v16, v16, 24
	v_mul_hi_u32 v33, v32, 24
	v_mul_lo_u32 v32, v32, 24
	s_delay_alu instid0(VALU_DEP_2) | instskip(SKIP_1) | instid1(VALU_DEP_2)
	v_add_nc_u32_e32 v16, v33, v16
	s_waitcnt vmcnt(0)
	v_add_co_u32 v32, vcc_lo, v36, v32
	s_delay_alu instid0(VALU_DEP_2)
	v_add_co_ci_u32_e32 v33, vcc_lo, v37, v16, vcc_lo
	global_load_b64 v[32:33], v[32:33], off glc
	s_waitcnt vmcnt(0)
	global_atomic_cmpswap_b64 v[36:37], v17, v[32:35], s[2:3] offset:24 glc
	s_waitcnt vmcnt(0)
	buffer_gl1_inv
	buffer_gl0_inv
	v_cmpx_ne_u64_e64 v[36:37], v[34:35]
	s_cbranch_execz .LBB1_92
; %bb.89:                               ;   in Loop: Header=BB1_31 Depth=1
	s_mov_b32 s5, 0
	.p2align	6
.LBB1_90:                               ;   Parent Loop BB1_31 Depth=1
                                        ; =>  This Inner Loop Header: Depth=2
	s_sleep 1
	s_clause 0x1
	global_load_b64 v[32:33], v17, s[2:3] offset:40
	global_load_b64 v[49:50], v17, s[2:3]
	v_dual_mov_b32 v34, v36 :: v_dual_mov_b32 v35, v37
	s_waitcnt vmcnt(1)
	s_delay_alu instid0(VALU_DEP_1) | instskip(SKIP_1) | instid1(VALU_DEP_1)
	v_and_b32_e32 v16, v32, v34
	s_waitcnt vmcnt(0)
	v_mad_u64_u32 v[36:37], null, v16, 24, v[49:50]
	v_and_b32_e32 v49, v33, v35
	s_delay_alu instid0(VALU_DEP_2) | instskip(NEXT) | instid1(VALU_DEP_1)
	v_mov_b32_e32 v16, v37
	v_mad_u64_u32 v[32:33], null, v49, 24, v[16:17]
	s_delay_alu instid0(VALU_DEP_1)
	v_mov_b32_e32 v37, v32
	global_load_b64 v[32:33], v[36:37], off glc
	s_waitcnt vmcnt(0)
	global_atomic_cmpswap_b64 v[36:37], v17, v[32:35], s[2:3] offset:24 glc
	s_waitcnt vmcnt(0)
	buffer_gl1_inv
	buffer_gl0_inv
	v_cmp_eq_u64_e32 vcc_lo, v[36:37], v[34:35]
	s_or_b32 s5, vcc_lo, s5
	s_delay_alu instid0(SALU_CYCLE_1)
	s_and_not1_b32 exec_lo, exec_lo, s5
	s_cbranch_execnz .LBB1_90
; %bb.91:                               ;   in Loop: Header=BB1_31 Depth=1
	s_or_b32 exec_lo, exec_lo, s5
.LBB1_92:                               ;   in Loop: Header=BB1_31 Depth=1
	s_delay_alu instid0(SALU_CYCLE_1)
	s_or_b32 exec_lo, exec_lo, s4
.LBB1_93:                               ;   in Loop: Header=BB1_31 Depth=1
	s_delay_alu instid0(SALU_CYCLE_1)
	s_or_b32 exec_lo, exec_lo, s1
	s_clause 0x1
	global_load_b64 v[49:50], v17, s[2:3] offset:40
	global_load_b128 v[32:35], v17, s[2:3]
	v_readfirstlane_b32 s4, v36
	v_readfirstlane_b32 s5, v37
	s_mov_b32 s1, exec_lo
	s_waitcnt vmcnt(1)
	v_readfirstlane_b32 s6, v49
	v_readfirstlane_b32 s7, v50
	s_delay_alu instid0(VALU_DEP_1) | instskip(NEXT) | instid1(SALU_CYCLE_1)
	s_and_b64 s[6:7], s[4:5], s[6:7]
	s_mul_i32 s12, s7, 24
	s_mul_hi_u32 s13, s6, 24
	s_mul_i32 s14, s6, 24
	s_add_i32 s13, s13, s12
	s_waitcnt vmcnt(0)
	v_add_co_u32 v36, vcc_lo, v32, s14
	v_add_co_ci_u32_e32 v37, vcc_lo, s13, v33, vcc_lo
	s_and_saveexec_b32 s12, s0
	s_cbranch_execz .LBB1_95
; %bb.94:                               ;   in Loop: Header=BB1_31 Depth=1
	v_mov_b32_e32 v16, s1
	global_store_b128 v[36:37], v[16:19], off offset:8
.LBB1_95:                               ;   in Loop: Header=BB1_31 Depth=1
	s_or_b32 exec_lo, exec_lo, s12
	v_cmp_lt_u64_e32 vcc_lo, 56, v[0:1]
	v_or_b32_e32 v16, 0, v11
	v_or_b32_e32 v49, v10, v5
	v_lshl_add_u32 v50, v3, 2, 28
	s_lshl_b64 s[6:7], s[6:7], 12
	s_delay_alu instid0(SALU_CYCLE_1) | instskip(NEXT) | instid1(VALU_DEP_1)
	v_add_co_u32 v34, s1, v34, s6
	v_add_co_ci_u32_e64 v35, s1, s7, v35, s1
	v_dual_cndmask_b32 v11, v16, v11 :: v_dual_cndmask_b32 v10, v49, v10
	v_and_b32_e32 v16, 0x1e0, v50
	s_delay_alu instid0(VALU_DEP_4) | instskip(NEXT) | instid1(VALU_DEP_4)
	v_readfirstlane_b32 s6, v34
	v_readfirstlane_b32 s7, v35
	s_delay_alu instid0(VALU_DEP_3)
	v_and_or_b32 v10, 0xffffff1f, v10, v16
	s_clause 0x3
	global_store_b128 v39, v[10:13], s[6:7]
	global_store_b128 v39, v[20:23], s[6:7] offset:16
	global_store_b128 v39, v[24:27], s[6:7] offset:32
	;; [unrolled: 1-line block ×3, first 2 shown]
	s_and_saveexec_b32 s1, s0
	s_cbranch_execz .LBB1_103
; %bb.96:                               ;   in Loop: Header=BB1_31 Depth=1
	s_clause 0x1
	global_load_b64 v[24:25], v17, s[2:3] offset:32 glc
	global_load_b64 v[10:11], v17, s[2:3] offset:40
	v_dual_mov_b32 v22, s4 :: v_dual_mov_b32 v23, s5
	s_waitcnt vmcnt(0)
	v_readfirstlane_b32 s6, v10
	v_readfirstlane_b32 s7, v11
	s_delay_alu instid0(VALU_DEP_1) | instskip(NEXT) | instid1(SALU_CYCLE_1)
	s_and_b64 s[6:7], s[6:7], s[4:5]
	s_mul_i32 s7, s7, 24
	s_mul_hi_u32 s12, s6, 24
	s_mul_i32 s6, s6, 24
	s_add_i32 s12, s12, s7
	v_add_co_u32 v20, vcc_lo, v32, s6
	v_add_co_ci_u32_e32 v21, vcc_lo, s12, v33, vcc_lo
	s_mov_b32 s6, exec_lo
	global_store_b64 v[20:21], v[24:25], off
	s_waitcnt_vscnt null, 0x0
	global_atomic_cmpswap_b64 v[12:13], v17, v[22:25], s[2:3] offset:32 glc
	s_waitcnt vmcnt(0)
	v_cmpx_ne_u64_e64 v[12:13], v[24:25]
	s_cbranch_execz .LBB1_99
; %bb.97:                               ;   in Loop: Header=BB1_31 Depth=1
	s_mov_b32 s7, 0
.LBB1_98:                               ;   Parent Loop BB1_31 Depth=1
                                        ; =>  This Inner Loop Header: Depth=2
	v_dual_mov_b32 v10, s4 :: v_dual_mov_b32 v11, s5
	s_sleep 1
	global_store_b64 v[20:21], v[12:13], off
	s_waitcnt_vscnt null, 0x0
	global_atomic_cmpswap_b64 v[10:11], v17, v[10:13], s[2:3] offset:32 glc
	s_waitcnt vmcnt(0)
	v_cmp_eq_u64_e32 vcc_lo, v[10:11], v[12:13]
	v_dual_mov_b32 v13, v11 :: v_dual_mov_b32 v12, v10
	s_or_b32 s7, vcc_lo, s7
	s_delay_alu instid0(SALU_CYCLE_1)
	s_and_not1_b32 exec_lo, exec_lo, s7
	s_cbranch_execnz .LBB1_98
.LBB1_99:                               ;   in Loop: Header=BB1_31 Depth=1
	s_or_b32 exec_lo, exec_lo, s6
	global_load_b64 v[10:11], v17, s[2:3] offset:16
	s_mov_b32 s7, exec_lo
	s_mov_b32 s6, exec_lo
	v_mbcnt_lo_u32_b32 v12, s7, 0
	s_delay_alu instid0(VALU_DEP_1)
	v_cmpx_eq_u32_e32 0, v12
	s_cbranch_execz .LBB1_101
; %bb.100:                              ;   in Loop: Header=BB1_31 Depth=1
	s_bcnt1_i32_b32 s7, s7
	s_delay_alu instid0(SALU_CYCLE_1)
	v_mov_b32_e32 v16, s7
	s_waitcnt vmcnt(0)
	global_atomic_add_u64 v[10:11], v[16:17], off offset:8
.LBB1_101:                              ;   in Loop: Header=BB1_31 Depth=1
	s_or_b32 exec_lo, exec_lo, s6
	s_waitcnt vmcnt(0)
	global_load_b64 v[12:13], v[10:11], off offset:16
	s_waitcnt vmcnt(0)
	v_cmp_eq_u64_e32 vcc_lo, 0, v[12:13]
	s_cbranch_vccnz .LBB1_103
; %bb.102:                              ;   in Loop: Header=BB1_31 Depth=1
	global_load_b32 v16, v[10:11], off offset:24
	s_waitcnt vmcnt(0)
	v_and_b32_e32 v10, 0xffffff, v16
	s_waitcnt_vscnt null, 0x0
	global_store_b64 v[12:13], v[16:17], off
	v_readfirstlane_b32 m0, v10
	s_sendmsg sendmsg(MSG_INTERRUPT)
.LBB1_103:                              ;   in Loop: Header=BB1_31 Depth=1
	s_or_b32 exec_lo, exec_lo, s1
	v_add_co_u32 v10, vcc_lo, v34, v39
	v_add_co_ci_u32_e32 v11, vcc_lo, 0, v35, vcc_lo
	s_branch .LBB1_107
	.p2align	6
.LBB1_104:                              ;   in Loop: Header=BB1_107 Depth=2
	s_or_b32 exec_lo, exec_lo, s1
	s_delay_alu instid0(VALU_DEP_1) | instskip(NEXT) | instid1(VALU_DEP_1)
	v_readfirstlane_b32 s1, v12
	s_cmp_eq_u32 s1, 0
	s_cbranch_scc1 .LBB1_106
; %bb.105:                              ;   in Loop: Header=BB1_107 Depth=2
	s_sleep 1
	s_cbranch_execnz .LBB1_107
	s_branch .LBB1_109
	.p2align	6
.LBB1_106:                              ;   in Loop: Header=BB1_31 Depth=1
	s_branch .LBB1_109
.LBB1_107:                              ;   Parent Loop BB1_31 Depth=1
                                        ; =>  This Inner Loop Header: Depth=2
	v_mov_b32_e32 v12, 1
	s_and_saveexec_b32 s1, s0
	s_cbranch_execz .LBB1_104
; %bb.108:                              ;   in Loop: Header=BB1_107 Depth=2
	global_load_b32 v12, v[36:37], off offset:20 glc
	s_waitcnt vmcnt(0)
	buffer_gl1_inv
	buffer_gl0_inv
	v_and_b32_e32 v12, 1, v12
	s_branch .LBB1_104
.LBB1_109:                              ;   in Loop: Header=BB1_31 Depth=1
	global_load_b128 v[10:13], v[10:11], off
	s_and_saveexec_b32 s1, s0
	s_cbranch_execz .LBB1_30
; %bb.110:                              ;   in Loop: Header=BB1_31 Depth=1
	s_clause 0x2
	global_load_b64 v[12:13], v17, s[2:3] offset:40
	global_load_b64 v[24:25], v17, s[2:3] offset:24 glc
	global_load_b64 v[22:23], v17, s[2:3]
	s_waitcnt vmcnt(2)
	v_add_co_u32 v16, vcc_lo, v12, 1
	v_add_co_ci_u32_e32 v26, vcc_lo, 0, v13, vcc_lo
	s_delay_alu instid0(VALU_DEP_2) | instskip(NEXT) | instid1(VALU_DEP_2)
	v_add_co_u32 v20, vcc_lo, v16, s4
	v_add_co_ci_u32_e32 v21, vcc_lo, s5, v26, vcc_lo
	s_delay_alu instid0(VALU_DEP_1) | instskip(SKIP_1) | instid1(VALU_DEP_1)
	v_cmp_eq_u64_e32 vcc_lo, 0, v[20:21]
	v_dual_cndmask_b32 v21, v21, v26 :: v_dual_cndmask_b32 v20, v20, v16
	v_and_b32_e32 v13, v21, v13
	s_delay_alu instid0(VALU_DEP_2) | instskip(NEXT) | instid1(VALU_DEP_1)
	v_and_b32_e32 v12, v20, v12
	v_mul_hi_u32 v16, v12, 24
	v_mul_lo_u32 v12, v12, 24
	s_waitcnt vmcnt(0)
	s_delay_alu instid0(VALU_DEP_1) | instskip(SKIP_2) | instid1(VALU_DEP_1)
	v_add_co_u32 v12, vcc_lo, v22, v12
	v_mov_b32_e32 v22, v24
	v_mul_lo_u32 v13, v13, 24
	v_add_nc_u32_e32 v13, v16, v13
	s_delay_alu instid0(VALU_DEP_1)
	v_add_co_ci_u32_e32 v13, vcc_lo, v23, v13, vcc_lo
	v_mov_b32_e32 v23, v25
	global_store_b64 v[12:13], v[24:25], off
	s_waitcnt_vscnt null, 0x0
	global_atomic_cmpswap_b64 v[22:23], v17, v[20:23], s[2:3] offset:24 glc
	s_waitcnt vmcnt(0)
	v_cmp_ne_u64_e32 vcc_lo, v[22:23], v[24:25]
	s_and_b32 exec_lo, exec_lo, vcc_lo
	s_cbranch_execz .LBB1_30
; %bb.111:                              ;   in Loop: Header=BB1_31 Depth=1
	s_mov_b32 s0, 0
.LBB1_112:                              ;   Parent Loop BB1_31 Depth=1
                                        ; =>  This Inner Loop Header: Depth=2
	s_sleep 1
	global_store_b64 v[12:13], v[22:23], off
	s_waitcnt_vscnt null, 0x0
	global_atomic_cmpswap_b64 v[24:25], v17, v[20:23], s[2:3] offset:24 glc
	s_waitcnt vmcnt(0)
	v_cmp_eq_u64_e32 vcc_lo, v[24:25], v[22:23]
	v_dual_mov_b32 v22, v24 :: v_dual_mov_b32 v23, v25
	s_or_b32 s0, vcc_lo, s0
	s_delay_alu instid0(SALU_CYCLE_1)
	s_and_not1_b32 exec_lo, exec_lo, s0
	s_cbranch_execnz .LBB1_112
	s_branch .LBB1_30
.LBB1_113:
                                        ; implicit-def: $vgpr10_vgpr11
	s_cbranch_execnz .LBB1_115
	s_branch .LBB1_142
.LBB1_114:
	s_or_b32 exec_lo, exec_lo, s10
	s_branch .LBB1_142
.LBB1_115:
	v_readfirstlane_b32 s0, v48
	v_mov_b32_e32 v0, 0
	v_mov_b32_e32 v1, 0
	s_delay_alu instid0(VALU_DEP_3) | instskip(NEXT) | instid1(VALU_DEP_1)
	v_cmp_eq_u32_e64 s0, s0, v48
	s_and_saveexec_b32 s1, s0
	s_cbranch_execz .LBB1_121
; %bb.116:
	v_mov_b32_e32 v3, 0
	s_mov_b32 s4, exec_lo
	global_load_b64 v[12:13], v3, s[2:3] offset:24 glc
	s_waitcnt vmcnt(0)
	buffer_gl1_inv
	buffer_gl0_inv
	s_clause 0x1
	global_load_b64 v[0:1], v3, s[2:3] offset:40
	global_load_b64 v[4:5], v3, s[2:3]
	s_waitcnt vmcnt(1)
	v_and_b32_e32 v0, v0, v12
	v_and_b32_e32 v1, v1, v13
	s_delay_alu instid0(VALU_DEP_2) | instskip(NEXT) | instid1(VALU_DEP_2)
	v_mul_hi_u32 v10, v0, 24
	v_mul_lo_u32 v1, v1, 24
	v_mul_lo_u32 v0, v0, 24
	s_delay_alu instid0(VALU_DEP_2) | instskip(SKIP_1) | instid1(VALU_DEP_2)
	v_add_nc_u32_e32 v1, v10, v1
	s_waitcnt vmcnt(0)
	v_add_co_u32 v0, vcc_lo, v4, v0
	s_delay_alu instid0(VALU_DEP_2)
	v_add_co_ci_u32_e32 v1, vcc_lo, v5, v1, vcc_lo
	global_load_b64 v[10:11], v[0:1], off glc
	s_waitcnt vmcnt(0)
	global_atomic_cmpswap_b64 v[0:1], v3, v[10:13], s[2:3] offset:24 glc
	s_waitcnt vmcnt(0)
	buffer_gl1_inv
	buffer_gl0_inv
	v_cmpx_ne_u64_e64 v[0:1], v[12:13]
	s_cbranch_execz .LBB1_120
; %bb.117:
	s_mov_b32 s5, 0
	.p2align	6
.LBB1_118:                              ; =>This Inner Loop Header: Depth=1
	s_sleep 1
	s_clause 0x1
	global_load_b64 v[4:5], v3, s[2:3] offset:40
	global_load_b64 v[10:11], v3, s[2:3]
	v_dual_mov_b32 v13, v1 :: v_dual_mov_b32 v12, v0
	s_waitcnt vmcnt(1)
	s_delay_alu instid0(VALU_DEP_1) | instskip(SKIP_1) | instid1(VALU_DEP_1)
	v_and_b32_e32 v4, v4, v12
	s_waitcnt vmcnt(0)
	v_mad_u64_u32 v[0:1], null, v4, 24, v[10:11]
	v_and_b32_e32 v10, v5, v13
	s_delay_alu instid0(VALU_DEP_1) | instskip(NEXT) | instid1(VALU_DEP_1)
	v_mad_u64_u32 v[4:5], null, v10, 24, v[1:2]
	v_mov_b32_e32 v1, v4
	global_load_b64 v[10:11], v[0:1], off glc
	s_waitcnt vmcnt(0)
	global_atomic_cmpswap_b64 v[0:1], v3, v[10:13], s[2:3] offset:24 glc
	s_waitcnt vmcnt(0)
	buffer_gl1_inv
	buffer_gl0_inv
	v_cmp_eq_u64_e32 vcc_lo, v[0:1], v[12:13]
	s_or_b32 s5, vcc_lo, s5
	s_delay_alu instid0(SALU_CYCLE_1)
	s_and_not1_b32 exec_lo, exec_lo, s5
	s_cbranch_execnz .LBB1_118
; %bb.119:
	s_or_b32 exec_lo, exec_lo, s5
.LBB1_120:
	s_delay_alu instid0(SALU_CYCLE_1)
	s_or_b32 exec_lo, exec_lo, s4
.LBB1_121:
	s_delay_alu instid0(SALU_CYCLE_1)
	s_or_b32 exec_lo, exec_lo, s1
	v_mov_b32_e32 v16, 0
	v_readfirstlane_b32 s4, v0
	v_readfirstlane_b32 s5, v1
	s_mov_b32 s1, exec_lo
	s_clause 0x1
	global_load_b64 v[3:4], v16, s[2:3] offset:40
	global_load_b128 v[10:13], v16, s[2:3]
	s_waitcnt vmcnt(1)
	v_readfirstlane_b32 s6, v3
	v_readfirstlane_b32 s7, v4
	s_delay_alu instid0(VALU_DEP_1) | instskip(NEXT) | instid1(SALU_CYCLE_1)
	s_and_b64 s[6:7], s[4:5], s[6:7]
	s_mul_i32 s10, s7, 24
	s_mul_hi_u32 s11, s6, 24
	s_mul_i32 s12, s6, 24
	s_add_i32 s11, s11, s10
	s_waitcnt vmcnt(0)
	v_add_co_u32 v0, vcc_lo, v10, s12
	v_add_co_ci_u32_e32 v1, vcc_lo, s11, v11, vcc_lo
	s_and_saveexec_b32 s10, s0
	s_cbranch_execz .LBB1_123
; %bb.122:
	v_dual_mov_b32 v17, s1 :: v_dual_mov_b32 v18, v16
	v_dual_mov_b32 v19, 2 :: v_dual_mov_b32 v20, 1
	global_store_b128 v[0:1], v[17:20], off offset:8
.LBB1_123:
	s_or_b32 exec_lo, exec_lo, s10
	s_lshl_b64 s[6:7], s[6:7], 12
	s_mov_b32 s12, 0
	v_add_co_u32 v3, vcc_lo, v12, s6
	v_add_co_ci_u32_e32 v4, vcc_lo, s7, v13, vcc_lo
	s_mov_b32 s15, s12
	s_delay_alu instid0(VALU_DEP_2)
	v_readfirstlane_b32 s6, v3
	v_add_co_u32 v3, vcc_lo, v3, v39
	s_mov_b32 s13, s12
	s_mov_b32 s14, s12
	v_and_or_b32 v14, 0xffffff1f, v14, 32
	v_mov_b32_e32 v17, v16
	v_readfirstlane_b32 s7, v4
	v_dual_mov_b32 v21, s15 :: v_dual_mov_b32 v18, s12
	v_add_co_ci_u32_e32 v4, vcc_lo, 0, v4, vcc_lo
	v_dual_mov_b32 v20, s14 :: v_dual_mov_b32 v19, s13
	s_clause 0x3
	global_store_b128 v39, v[14:17], s[6:7]
	global_store_b128 v39, v[18:21], s[6:7] offset:16
	global_store_b128 v39, v[18:21], s[6:7] offset:32
	;; [unrolled: 1-line block ×3, first 2 shown]
	s_and_saveexec_b32 s1, s0
	s_cbranch_execz .LBB1_131
; %bb.124:
	v_dual_mov_b32 v5, 0 :: v_dual_mov_b32 v16, s4
	v_mov_b32_e32 v17, s5
	s_clause 0x1
	global_load_b64 v[18:19], v5, s[2:3] offset:32 glc
	global_load_b64 v[12:13], v5, s[2:3] offset:40
	s_waitcnt vmcnt(0)
	v_readfirstlane_b32 s6, v12
	v_readfirstlane_b32 s7, v13
	s_delay_alu instid0(VALU_DEP_1) | instskip(NEXT) | instid1(SALU_CYCLE_1)
	s_and_b64 s[6:7], s[6:7], s[4:5]
	s_mul_i32 s7, s7, 24
	s_mul_hi_u32 s10, s6, 24
	s_mul_i32 s6, s6, 24
	s_add_i32 s10, s10, s7
	v_add_co_u32 v14, vcc_lo, v10, s6
	v_add_co_ci_u32_e32 v15, vcc_lo, s10, v11, vcc_lo
	s_mov_b32 s6, exec_lo
	global_store_b64 v[14:15], v[18:19], off
	s_waitcnt_vscnt null, 0x0
	global_atomic_cmpswap_b64 v[12:13], v5, v[16:19], s[2:3] offset:32 glc
	s_waitcnt vmcnt(0)
	v_cmpx_ne_u64_e64 v[12:13], v[18:19]
	s_cbranch_execz .LBB1_127
; %bb.125:
	s_mov_b32 s7, 0
.LBB1_126:                              ; =>This Inner Loop Header: Depth=1
	v_dual_mov_b32 v10, s4 :: v_dual_mov_b32 v11, s5
	s_sleep 1
	global_store_b64 v[14:15], v[12:13], off
	s_waitcnt_vscnt null, 0x0
	global_atomic_cmpswap_b64 v[10:11], v5, v[10:13], s[2:3] offset:32 glc
	s_waitcnt vmcnt(0)
	v_cmp_eq_u64_e32 vcc_lo, v[10:11], v[12:13]
	v_dual_mov_b32 v13, v11 :: v_dual_mov_b32 v12, v10
	s_or_b32 s7, vcc_lo, s7
	s_delay_alu instid0(SALU_CYCLE_1)
	s_and_not1_b32 exec_lo, exec_lo, s7
	s_cbranch_execnz .LBB1_126
.LBB1_127:
	s_or_b32 exec_lo, exec_lo, s6
	v_mov_b32_e32 v13, 0
	s_mov_b32 s7, exec_lo
	s_mov_b32 s6, exec_lo
	v_mbcnt_lo_u32_b32 v5, s7, 0
	global_load_b64 v[10:11], v13, s[2:3] offset:16
	v_cmpx_eq_u32_e32 0, v5
	s_cbranch_execz .LBB1_129
; %bb.128:
	s_bcnt1_i32_b32 s7, s7
	s_delay_alu instid0(SALU_CYCLE_1)
	v_mov_b32_e32 v12, s7
	s_waitcnt vmcnt(0)
	global_atomic_add_u64 v[10:11], v[12:13], off offset:8
.LBB1_129:
	s_or_b32 exec_lo, exec_lo, s6
	s_waitcnt vmcnt(0)
	global_load_b64 v[12:13], v[10:11], off offset:16
	s_waitcnt vmcnt(0)
	v_cmp_eq_u64_e32 vcc_lo, 0, v[12:13]
	s_cbranch_vccnz .LBB1_131
; %bb.130:
	global_load_b32 v10, v[10:11], off offset:24
	v_mov_b32_e32 v11, 0
	s_waitcnt vmcnt(0)
	v_and_b32_e32 v5, 0xffffff, v10
	s_waitcnt_vscnt null, 0x0
	global_store_b64 v[12:13], v[10:11], off
	v_readfirstlane_b32 m0, v5
	s_sendmsg sendmsg(MSG_INTERRUPT)
.LBB1_131:
	s_or_b32 exec_lo, exec_lo, s1
	s_branch .LBB1_135
	.p2align	6
.LBB1_132:                              ;   in Loop: Header=BB1_135 Depth=1
	s_or_b32 exec_lo, exec_lo, s1
	s_delay_alu instid0(VALU_DEP_1) | instskip(NEXT) | instid1(VALU_DEP_1)
	v_readfirstlane_b32 s1, v5
	s_cmp_eq_u32 s1, 0
	s_cbranch_scc1 .LBB1_134
; %bb.133:                              ;   in Loop: Header=BB1_135 Depth=1
	s_sleep 1
	s_cbranch_execnz .LBB1_135
	s_branch .LBB1_137
	.p2align	6
.LBB1_134:
	s_branch .LBB1_137
.LBB1_135:                              ; =>This Inner Loop Header: Depth=1
	v_mov_b32_e32 v5, 1
	s_and_saveexec_b32 s1, s0
	s_cbranch_execz .LBB1_132
; %bb.136:                              ;   in Loop: Header=BB1_135 Depth=1
	global_load_b32 v5, v[0:1], off offset:20 glc
	s_waitcnt vmcnt(0)
	buffer_gl1_inv
	buffer_gl0_inv
	v_and_b32_e32 v5, 1, v5
	s_branch .LBB1_132
.LBB1_137:
	global_load_b64 v[10:11], v[3:4], off
	s_and_saveexec_b32 s1, s0
	s_cbranch_execz .LBB1_141
; %bb.138:
	v_mov_b32_e32 v3, 0
	s_clause 0x2
	global_load_b64 v[0:1], v3, s[2:3] offset:40
	global_load_b64 v[4:5], v3, s[2:3] offset:24 glc
	global_load_b64 v[14:15], v3, s[2:3]
	s_waitcnt vmcnt(2)
	v_add_co_u32 v16, vcc_lo, v0, 1
	v_add_co_ci_u32_e32 v17, vcc_lo, 0, v1, vcc_lo
	s_delay_alu instid0(VALU_DEP_2) | instskip(NEXT) | instid1(VALU_DEP_2)
	v_add_co_u32 v12, vcc_lo, v16, s4
	v_add_co_ci_u32_e32 v13, vcc_lo, s5, v17, vcc_lo
	s_delay_alu instid0(VALU_DEP_1) | instskip(SKIP_1) | instid1(VALU_DEP_1)
	v_cmp_eq_u64_e32 vcc_lo, 0, v[12:13]
	v_dual_cndmask_b32 v12, v12, v16 :: v_dual_cndmask_b32 v13, v13, v17
	v_and_b32_e32 v0, v12, v0
	s_delay_alu instid0(VALU_DEP_2) | instskip(NEXT) | instid1(VALU_DEP_2)
	v_and_b32_e32 v1, v13, v1
	v_mul_hi_u32 v16, v0, 24
	v_mul_lo_u32 v0, v0, 24
	s_waitcnt vmcnt(0)
	s_delay_alu instid0(VALU_DEP_1) | instskip(SKIP_2) | instid1(VALU_DEP_1)
	v_add_co_u32 v0, vcc_lo, v14, v0
	v_mov_b32_e32 v14, v4
	v_mul_lo_u32 v1, v1, 24
	v_add_nc_u32_e32 v1, v16, v1
	s_delay_alu instid0(VALU_DEP_1)
	v_add_co_ci_u32_e32 v1, vcc_lo, v15, v1, vcc_lo
	v_mov_b32_e32 v15, v5
	global_store_b64 v[0:1], v[4:5], off
	s_waitcnt_vscnt null, 0x0
	global_atomic_cmpswap_b64 v[14:15], v3, v[12:15], s[2:3] offset:24 glc
	s_waitcnt vmcnt(0)
	v_cmp_ne_u64_e32 vcc_lo, v[14:15], v[4:5]
	s_and_b32 exec_lo, exec_lo, vcc_lo
	s_cbranch_execz .LBB1_141
; %bb.139:
	s_mov_b32 s0, 0
.LBB1_140:                              ; =>This Inner Loop Header: Depth=1
	s_sleep 1
	global_store_b64 v[0:1], v[14:15], off
	s_waitcnt_vscnt null, 0x0
	global_atomic_cmpswap_b64 v[4:5], v3, v[12:15], s[2:3] offset:24 glc
	s_waitcnt vmcnt(0)
	v_cmp_eq_u64_e32 vcc_lo, v[4:5], v[14:15]
	v_dual_mov_b32 v15, v5 :: v_dual_mov_b32 v14, v4
	s_or_b32 s0, vcc_lo, s0
	s_delay_alu instid0(SALU_CYCLE_1)
	s_and_not1_b32 exec_lo, exec_lo, s0
	s_cbranch_execnz .LBB1_140
.LBB1_141:
	s_or_b32 exec_lo, exec_lo, s1
.LBB1_142:
	s_getpc_b64 s[4:5]
	s_add_u32 s4, s4, .str.1@rel32@lo+4
	s_addc_u32 s5, s5, .str.1@rel32@hi+12
	s_delay_alu instid0(SALU_CYCLE_1)
	s_cmp_lg_u64 s[4:5], 0
	s_cbranch_scc0 .LBB1_220
; %bb.143:
	s_getpc_b64 s[0:1]
	s_add_u32 s0, s0, .str.1@rel32@lo+94
	s_addc_u32 s1, s1, .str.1@rel32@hi+102
	s_waitcnt vmcnt(0)
	v_dual_mov_b32 v16, 0 :: v_dual_and_b32 v5, 2, v10
	v_dual_mov_b32 v13, v11 :: v_dual_and_b32 v12, -3, v10
	v_dual_mov_b32 v17, 2 :: v_dual_mov_b32 v18, 1
	s_sub_i32 s6, s0, s4
	s_delay_alu instid0(SALU_CYCLE_1)
	s_ashr_i32 s7, s6, 31
	s_branch .LBB1_145
.LBB1_144:                              ;   in Loop: Header=BB1_145 Depth=1
	s_or_b32 exec_lo, exec_lo, s1
	s_sub_u32 s6, s6, s10
	s_subb_u32 s7, s7, s11
	s_add_u32 s4, s4, s10
	s_addc_u32 s5, s5, s11
	s_cmp_lg_u64 s[6:7], 0
	s_cbranch_scc0 .LBB1_221
.LBB1_145:                              ; =>This Loop Header: Depth=1
                                        ;     Child Loop BB1_154 Depth 2
                                        ;     Child Loop BB1_150 Depth 2
	;; [unrolled: 1-line block ×11, first 2 shown]
	v_cmp_lt_u64_e64 s0, s[6:7], 56
	v_cmp_gt_u64_e64 s1, s[6:7], 7
                                        ; implicit-def: $vgpr21_vgpr22
                                        ; implicit-def: $sgpr16
	s_delay_alu instid0(VALU_DEP_2) | instskip(SKIP_2) | instid1(VALU_DEP_1)
	s_and_b32 s0, s0, exec_lo
	s_cselect_b32 s11, s7, 0
	s_cselect_b32 s10, s6, 56
	s_and_b32 vcc_lo, exec_lo, s1
	s_mov_b32 s0, -1
	s_cbranch_vccz .LBB1_152
; %bb.146:                              ;   in Loop: Header=BB1_145 Depth=1
	s_and_not1_b32 vcc_lo, exec_lo, s0
	s_mov_b64 s[0:1], s[4:5]
	s_cbranch_vccz .LBB1_156
.LBB1_147:                              ;   in Loop: Header=BB1_145 Depth=1
	s_cmp_gt_u32 s16, 7
	s_cbranch_scc1 .LBB1_157
.LBB1_148:                              ;   in Loop: Header=BB1_145 Depth=1
	v_mov_b32_e32 v23, 0
	v_mov_b32_e32 v24, 0
	s_cmp_eq_u32 s16, 0
	s_cbranch_scc1 .LBB1_151
; %bb.149:                              ;   in Loop: Header=BB1_145 Depth=1
	s_mov_b64 s[12:13], 0
	s_mov_b64 s[14:15], 0
.LBB1_150:                              ;   Parent Loop BB1_145 Depth=1
                                        ; =>  This Inner Loop Header: Depth=2
	s_delay_alu instid0(SALU_CYCLE_1)
	s_add_u32 s18, s0, s14
	s_addc_u32 s19, s1, s15
	s_add_u32 s14, s14, 1
	global_load_u8 v0, v16, s[18:19]
	s_addc_u32 s15, s15, 0
	s_waitcnt vmcnt(0)
	v_and_b32_e32 v15, 0xffff, v0
	s_delay_alu instid0(VALU_DEP_1) | instskip(SKIP_3) | instid1(VALU_DEP_1)
	v_lshlrev_b64 v[0:1], s12, v[15:16]
	s_add_u32 s12, s12, 8
	s_addc_u32 s13, s13, 0
	s_cmp_lg_u32 s16, s14
	v_or_b32_e32 v23, v0, v23
	s_delay_alu instid0(VALU_DEP_2)
	v_or_b32_e32 v24, v1, v24
	s_cbranch_scc1 .LBB1_150
.LBB1_151:                              ;   in Loop: Header=BB1_145 Depth=1
	s_mov_b32 s17, 0
	s_cbranch_execz .LBB1_158
	s_branch .LBB1_159
.LBB1_152:                              ;   in Loop: Header=BB1_145 Depth=1
	v_mov_b32_e32 v21, 0
	v_mov_b32_e32 v22, 0
	s_cmp_eq_u64 s[6:7], 0
	s_mov_b64 s[0:1], 0
	s_cbranch_scc1 .LBB1_155
; %bb.153:                              ;   in Loop: Header=BB1_145 Depth=1
	v_mov_b32_e32 v21, 0
	v_mov_b32_e32 v22, 0
	s_lshl_b64 s[12:13], s[10:11], 3
	s_mov_b64 s[14:15], s[4:5]
.LBB1_154:                              ;   Parent Loop BB1_145 Depth=1
                                        ; =>  This Inner Loop Header: Depth=2
	global_load_u8 v0, v16, s[14:15]
	s_waitcnt vmcnt(0)
	v_and_b32_e32 v15, 0xffff, v0
	s_delay_alu instid0(VALU_DEP_1)
	v_lshlrev_b64 v[0:1], s0, v[15:16]
	s_add_u32 s0, s0, 8
	s_addc_u32 s1, s1, 0
	s_add_u32 s14, s14, 1
	s_addc_u32 s15, s15, 0
	s_cmp_lg_u32 s12, s0
	v_or_b32_e32 v21, v0, v21
	v_or_b32_e32 v22, v1, v22
	s_cbranch_scc1 .LBB1_154
.LBB1_155:                              ;   in Loop: Header=BB1_145 Depth=1
	s_mov_b32 s16, 0
	s_mov_b64 s[0:1], s[4:5]
	s_cbranch_execnz .LBB1_147
.LBB1_156:                              ;   in Loop: Header=BB1_145 Depth=1
	global_load_b64 v[21:22], v16, s[4:5]
	s_add_i32 s16, s10, -8
	s_add_u32 s0, s4, 8
	s_addc_u32 s1, s5, 0
	s_cmp_gt_u32 s16, 7
	s_cbranch_scc0 .LBB1_148
.LBB1_157:                              ;   in Loop: Header=BB1_145 Depth=1
                                        ; implicit-def: $vgpr23_vgpr24
                                        ; implicit-def: $sgpr17
.LBB1_158:                              ;   in Loop: Header=BB1_145 Depth=1
	global_load_b64 v[23:24], v16, s[0:1]
	s_add_i32 s17, s16, -8
	s_add_u32 s0, s0, 8
	s_addc_u32 s1, s1, 0
.LBB1_159:                              ;   in Loop: Header=BB1_145 Depth=1
	s_cmp_gt_u32 s17, 7
	s_cbranch_scc1 .LBB1_164
; %bb.160:                              ;   in Loop: Header=BB1_145 Depth=1
	v_mov_b32_e32 v25, 0
	v_mov_b32_e32 v26, 0
	s_cmp_eq_u32 s17, 0
	s_cbranch_scc1 .LBB1_163
; %bb.161:                              ;   in Loop: Header=BB1_145 Depth=1
	s_mov_b64 s[12:13], 0
	s_mov_b64 s[14:15], 0
.LBB1_162:                              ;   Parent Loop BB1_145 Depth=1
                                        ; =>  This Inner Loop Header: Depth=2
	s_delay_alu instid0(SALU_CYCLE_1)
	s_add_u32 s18, s0, s14
	s_addc_u32 s19, s1, s15
	s_add_u32 s14, s14, 1
	global_load_u8 v0, v16, s[18:19]
	s_addc_u32 s15, s15, 0
	s_waitcnt vmcnt(0)
	v_and_b32_e32 v15, 0xffff, v0
	s_delay_alu instid0(VALU_DEP_1) | instskip(SKIP_3) | instid1(VALU_DEP_1)
	v_lshlrev_b64 v[0:1], s12, v[15:16]
	s_add_u32 s12, s12, 8
	s_addc_u32 s13, s13, 0
	s_cmp_lg_u32 s17, s14
	v_or_b32_e32 v25, v0, v25
	s_delay_alu instid0(VALU_DEP_2)
	v_or_b32_e32 v26, v1, v26
	s_cbranch_scc1 .LBB1_162
.LBB1_163:                              ;   in Loop: Header=BB1_145 Depth=1
	s_mov_b32 s16, 0
	s_cbranch_execz .LBB1_165
	s_branch .LBB1_166
.LBB1_164:                              ;   in Loop: Header=BB1_145 Depth=1
                                        ; implicit-def: $sgpr16
.LBB1_165:                              ;   in Loop: Header=BB1_145 Depth=1
	global_load_b64 v[25:26], v16, s[0:1]
	s_add_i32 s16, s17, -8
	s_add_u32 s0, s0, 8
	s_addc_u32 s1, s1, 0
.LBB1_166:                              ;   in Loop: Header=BB1_145 Depth=1
	s_cmp_gt_u32 s16, 7
	s_cbranch_scc1 .LBB1_171
; %bb.167:                              ;   in Loop: Header=BB1_145 Depth=1
	v_mov_b32_e32 v27, 0
	v_mov_b32_e32 v28, 0
	s_cmp_eq_u32 s16, 0
	s_cbranch_scc1 .LBB1_170
; %bb.168:                              ;   in Loop: Header=BB1_145 Depth=1
	s_mov_b64 s[12:13], 0
	s_mov_b64 s[14:15], 0
.LBB1_169:                              ;   Parent Loop BB1_145 Depth=1
                                        ; =>  This Inner Loop Header: Depth=2
	s_delay_alu instid0(SALU_CYCLE_1)
	s_add_u32 s18, s0, s14
	s_addc_u32 s19, s1, s15
	s_add_u32 s14, s14, 1
	global_load_u8 v0, v16, s[18:19]
	s_addc_u32 s15, s15, 0
	s_waitcnt vmcnt(0)
	v_and_b32_e32 v15, 0xffff, v0
	s_delay_alu instid0(VALU_DEP_1) | instskip(SKIP_3) | instid1(VALU_DEP_1)
	v_lshlrev_b64 v[0:1], s12, v[15:16]
	s_add_u32 s12, s12, 8
	s_addc_u32 s13, s13, 0
	s_cmp_lg_u32 s16, s14
	v_or_b32_e32 v27, v0, v27
	s_delay_alu instid0(VALU_DEP_2)
	v_or_b32_e32 v28, v1, v28
	s_cbranch_scc1 .LBB1_169
.LBB1_170:                              ;   in Loop: Header=BB1_145 Depth=1
	s_mov_b32 s17, 0
	s_cbranch_execz .LBB1_172
	s_branch .LBB1_173
.LBB1_171:                              ;   in Loop: Header=BB1_145 Depth=1
                                        ; implicit-def: $vgpr27_vgpr28
                                        ; implicit-def: $sgpr17
.LBB1_172:                              ;   in Loop: Header=BB1_145 Depth=1
	global_load_b64 v[27:28], v16, s[0:1]
	s_add_i32 s17, s16, -8
	s_add_u32 s0, s0, 8
	s_addc_u32 s1, s1, 0
.LBB1_173:                              ;   in Loop: Header=BB1_145 Depth=1
	s_cmp_gt_u32 s17, 7
	s_cbranch_scc1 .LBB1_178
; %bb.174:                              ;   in Loop: Header=BB1_145 Depth=1
	v_mov_b32_e32 v29, 0
	v_mov_b32_e32 v30, 0
	s_cmp_eq_u32 s17, 0
	s_cbranch_scc1 .LBB1_177
; %bb.175:                              ;   in Loop: Header=BB1_145 Depth=1
	s_mov_b64 s[12:13], 0
	s_mov_b64 s[14:15], 0
.LBB1_176:                              ;   Parent Loop BB1_145 Depth=1
                                        ; =>  This Inner Loop Header: Depth=2
	s_delay_alu instid0(SALU_CYCLE_1)
	s_add_u32 s18, s0, s14
	s_addc_u32 s19, s1, s15
	s_add_u32 s14, s14, 1
	global_load_u8 v0, v16, s[18:19]
	s_addc_u32 s15, s15, 0
	s_waitcnt vmcnt(0)
	v_and_b32_e32 v15, 0xffff, v0
	s_delay_alu instid0(VALU_DEP_1) | instskip(SKIP_3) | instid1(VALU_DEP_1)
	v_lshlrev_b64 v[0:1], s12, v[15:16]
	s_add_u32 s12, s12, 8
	s_addc_u32 s13, s13, 0
	s_cmp_lg_u32 s17, s14
	v_or_b32_e32 v29, v0, v29
	s_delay_alu instid0(VALU_DEP_2)
	v_or_b32_e32 v30, v1, v30
	s_cbranch_scc1 .LBB1_176
.LBB1_177:                              ;   in Loop: Header=BB1_145 Depth=1
	s_mov_b32 s16, 0
	s_cbranch_execz .LBB1_179
	s_branch .LBB1_180
.LBB1_178:                              ;   in Loop: Header=BB1_145 Depth=1
                                        ; implicit-def: $sgpr16
.LBB1_179:                              ;   in Loop: Header=BB1_145 Depth=1
	global_load_b64 v[29:30], v16, s[0:1]
	s_add_i32 s16, s17, -8
	s_add_u32 s0, s0, 8
	s_addc_u32 s1, s1, 0
.LBB1_180:                              ;   in Loop: Header=BB1_145 Depth=1
	s_cmp_gt_u32 s16, 7
	s_cbranch_scc1 .LBB1_185
; %bb.181:                              ;   in Loop: Header=BB1_145 Depth=1
	v_mov_b32_e32 v31, 0
	v_mov_b32_e32 v32, 0
	s_cmp_eq_u32 s16, 0
	s_cbranch_scc1 .LBB1_184
; %bb.182:                              ;   in Loop: Header=BB1_145 Depth=1
	s_mov_b64 s[12:13], 0
	s_mov_b64 s[14:15], 0
.LBB1_183:                              ;   Parent Loop BB1_145 Depth=1
                                        ; =>  This Inner Loop Header: Depth=2
	s_delay_alu instid0(SALU_CYCLE_1)
	s_add_u32 s18, s0, s14
	s_addc_u32 s19, s1, s15
	s_add_u32 s14, s14, 1
	global_load_u8 v0, v16, s[18:19]
	s_addc_u32 s15, s15, 0
	s_waitcnt vmcnt(0)
	v_and_b32_e32 v15, 0xffff, v0
	s_delay_alu instid0(VALU_DEP_1) | instskip(SKIP_3) | instid1(VALU_DEP_1)
	v_lshlrev_b64 v[0:1], s12, v[15:16]
	s_add_u32 s12, s12, 8
	s_addc_u32 s13, s13, 0
	s_cmp_lg_u32 s16, s14
	v_or_b32_e32 v31, v0, v31
	s_delay_alu instid0(VALU_DEP_2)
	v_or_b32_e32 v32, v1, v32
	s_cbranch_scc1 .LBB1_183
.LBB1_184:                              ;   in Loop: Header=BB1_145 Depth=1
	s_mov_b32 s17, 0
	s_cbranch_execz .LBB1_186
	s_branch .LBB1_187
.LBB1_185:                              ;   in Loop: Header=BB1_145 Depth=1
                                        ; implicit-def: $vgpr31_vgpr32
                                        ; implicit-def: $sgpr17
.LBB1_186:                              ;   in Loop: Header=BB1_145 Depth=1
	global_load_b64 v[31:32], v16, s[0:1]
	s_add_i32 s17, s16, -8
	s_add_u32 s0, s0, 8
	s_addc_u32 s1, s1, 0
.LBB1_187:                              ;   in Loop: Header=BB1_145 Depth=1
	s_cmp_gt_u32 s17, 7
	s_cbranch_scc1 .LBB1_192
; %bb.188:                              ;   in Loop: Header=BB1_145 Depth=1
	v_mov_b32_e32 v33, 0
	v_mov_b32_e32 v34, 0
	s_cmp_eq_u32 s17, 0
	s_cbranch_scc1 .LBB1_191
; %bb.189:                              ;   in Loop: Header=BB1_145 Depth=1
	s_mov_b64 s[12:13], 0
	s_mov_b64 s[14:15], s[0:1]
.LBB1_190:                              ;   Parent Loop BB1_145 Depth=1
                                        ; =>  This Inner Loop Header: Depth=2
	global_load_u8 v0, v16, s[14:15]
	s_add_i32 s17, s17, -1
	s_waitcnt vmcnt(0)
	v_and_b32_e32 v15, 0xffff, v0
	s_delay_alu instid0(VALU_DEP_1)
	v_lshlrev_b64 v[0:1], s12, v[15:16]
	s_add_u32 s12, s12, 8
	s_addc_u32 s13, s13, 0
	s_add_u32 s14, s14, 1
	s_addc_u32 s15, s15, 0
	s_cmp_lg_u32 s17, 0
	v_or_b32_e32 v33, v0, v33
	v_or_b32_e32 v34, v1, v34
	s_cbranch_scc1 .LBB1_190
.LBB1_191:                              ;   in Loop: Header=BB1_145 Depth=1
	s_cbranch_execz .LBB1_193
	s_branch .LBB1_194
.LBB1_192:                              ;   in Loop: Header=BB1_145 Depth=1
.LBB1_193:                              ;   in Loop: Header=BB1_145 Depth=1
	global_load_b64 v[33:34], v16, s[0:1]
.LBB1_194:                              ;   in Loop: Header=BB1_145 Depth=1
	v_readfirstlane_b32 s0, v48
	v_mov_b32_e32 v0, 0
	v_mov_b32_e32 v1, 0
	s_delay_alu instid0(VALU_DEP_3) | instskip(NEXT) | instid1(VALU_DEP_1)
	v_cmp_eq_u32_e64 s0, s0, v48
	s_and_saveexec_b32 s1, s0
	s_cbranch_execz .LBB1_200
; %bb.195:                              ;   in Loop: Header=BB1_145 Depth=1
	global_load_b64 v[37:38], v16, s[2:3] offset:24 glc
	s_waitcnt vmcnt(0)
	buffer_gl1_inv
	buffer_gl0_inv
	s_clause 0x1
	global_load_b64 v[0:1], v16, s[2:3] offset:40
	global_load_b64 v[3:4], v16, s[2:3]
	s_mov_b32 s12, exec_lo
	s_waitcnt vmcnt(1)
	v_and_b32_e32 v1, v1, v38
	v_and_b32_e32 v0, v0, v37
	s_delay_alu instid0(VALU_DEP_2) | instskip(NEXT) | instid1(VALU_DEP_2)
	v_mul_lo_u32 v1, v1, 24
	v_mul_hi_u32 v14, v0, 24
	v_mul_lo_u32 v0, v0, 24
	s_delay_alu instid0(VALU_DEP_2) | instskip(SKIP_1) | instid1(VALU_DEP_2)
	v_add_nc_u32_e32 v1, v14, v1
	s_waitcnt vmcnt(0)
	v_add_co_u32 v0, vcc_lo, v3, v0
	s_delay_alu instid0(VALU_DEP_2)
	v_add_co_ci_u32_e32 v1, vcc_lo, v4, v1, vcc_lo
	global_load_b64 v[35:36], v[0:1], off glc
	s_waitcnt vmcnt(0)
	global_atomic_cmpswap_b64 v[0:1], v16, v[35:38], s[2:3] offset:24 glc
	s_waitcnt vmcnt(0)
	buffer_gl1_inv
	buffer_gl0_inv
	v_cmpx_ne_u64_e64 v[0:1], v[37:38]
	s_cbranch_execz .LBB1_199
; %bb.196:                              ;   in Loop: Header=BB1_145 Depth=1
	s_mov_b32 s13, 0
	.p2align	6
.LBB1_197:                              ;   Parent Loop BB1_145 Depth=1
                                        ; =>  This Inner Loop Header: Depth=2
	s_sleep 1
	s_clause 0x1
	global_load_b64 v[3:4], v16, s[2:3] offset:40
	global_load_b64 v[14:15], v16, s[2:3]
	v_dual_mov_b32 v38, v1 :: v_dual_mov_b32 v37, v0
	s_waitcnt vmcnt(1)
	s_delay_alu instid0(VALU_DEP_1) | instskip(SKIP_1) | instid1(VALU_DEP_1)
	v_and_b32_e32 v3, v3, v37
	s_waitcnt vmcnt(0)
	v_mad_u64_u32 v[0:1], null, v3, 24, v[14:15]
	v_and_b32_e32 v14, v4, v38
	s_delay_alu instid0(VALU_DEP_1) | instskip(NEXT) | instid1(VALU_DEP_1)
	v_mad_u64_u32 v[3:4], null, v14, 24, v[1:2]
	v_mov_b32_e32 v1, v3
	global_load_b64 v[35:36], v[0:1], off glc
	s_waitcnt vmcnt(0)
	global_atomic_cmpswap_b64 v[0:1], v16, v[35:38], s[2:3] offset:24 glc
	s_waitcnt vmcnt(0)
	buffer_gl1_inv
	buffer_gl0_inv
	v_cmp_eq_u64_e32 vcc_lo, v[0:1], v[37:38]
	s_or_b32 s13, vcc_lo, s13
	s_delay_alu instid0(SALU_CYCLE_1)
	s_and_not1_b32 exec_lo, exec_lo, s13
	s_cbranch_execnz .LBB1_197
; %bb.198:                              ;   in Loop: Header=BB1_145 Depth=1
	s_or_b32 exec_lo, exec_lo, s13
.LBB1_199:                              ;   in Loop: Header=BB1_145 Depth=1
	s_delay_alu instid0(SALU_CYCLE_1)
	s_or_b32 exec_lo, exec_lo, s12
.LBB1_200:                              ;   in Loop: Header=BB1_145 Depth=1
	s_delay_alu instid0(SALU_CYCLE_1)
	s_or_b32 exec_lo, exec_lo, s1
	s_clause 0x1
	global_load_b64 v[3:4], v16, s[2:3] offset:40
	global_load_b128 v[35:38], v16, s[2:3]
	v_readfirstlane_b32 s12, v0
	v_readfirstlane_b32 s13, v1
	s_mov_b32 s1, exec_lo
	s_waitcnt vmcnt(1)
	v_readfirstlane_b32 s14, v3
	v_readfirstlane_b32 s15, v4
	s_delay_alu instid0(VALU_DEP_1) | instskip(NEXT) | instid1(SALU_CYCLE_1)
	s_and_b64 s[14:15], s[12:13], s[14:15]
	s_mul_i32 s16, s15, 24
	s_mul_hi_u32 s17, s14, 24
	s_mul_i32 s18, s14, 24
	s_add_i32 s17, s17, s16
	s_waitcnt vmcnt(0)
	v_add_co_u32 v0, vcc_lo, v35, s18
	v_add_co_ci_u32_e32 v1, vcc_lo, s17, v36, vcc_lo
	s_and_saveexec_b32 s16, s0
	s_cbranch_execz .LBB1_202
; %bb.201:                              ;   in Loop: Header=BB1_145 Depth=1
	v_mov_b32_e32 v15, s1
	global_store_b128 v[0:1], v[15:18], off offset:8
.LBB1_202:                              ;   in Loop: Header=BB1_145 Depth=1
	s_or_b32 exec_lo, exec_lo, s16
	s_lshl_b64 s[14:15], s[14:15], 12
	v_cmp_gt_u64_e64 vcc_lo, s[6:7], 56
	v_or_b32_e32 v3, 0, v13
	v_or_b32_e32 v4, v12, v5
	v_add_co_u32 v37, s1, v37, s14
	s_delay_alu instid0(VALU_DEP_1) | instskip(SKIP_1) | instid1(VALU_DEP_3)
	v_add_co_ci_u32_e64 v38, s1, s15, v38, s1
	s_lshl_b32 s1, s10, 2
	v_dual_cndmask_b32 v20, v3, v13 :: v_dual_cndmask_b32 v3, v4, v12
	s_add_i32 s1, s1, 28
	v_readfirstlane_b32 s14, v37
	s_and_b32 s1, s1, 0x1e0
	v_readfirstlane_b32 s15, v38
	v_and_or_b32 v19, 0xffffff1f, v3, s1
	s_clause 0x3
	global_store_b128 v39, v[19:22], s[14:15]
	global_store_b128 v39, v[23:26], s[14:15] offset:16
	global_store_b128 v39, v[27:30], s[14:15] offset:32
	;; [unrolled: 1-line block ×3, first 2 shown]
	s_and_saveexec_b32 s1, s0
	s_cbranch_execz .LBB1_210
; %bb.203:                              ;   in Loop: Header=BB1_145 Depth=1
	s_clause 0x1
	global_load_b64 v[21:22], v16, s[2:3] offset:32 glc
	global_load_b64 v[3:4], v16, s[2:3] offset:40
	v_dual_mov_b32 v19, s12 :: v_dual_mov_b32 v20, s13
	s_waitcnt vmcnt(0)
	v_readfirstlane_b32 s14, v3
	v_readfirstlane_b32 s15, v4
	s_delay_alu instid0(VALU_DEP_1) | instskip(NEXT) | instid1(SALU_CYCLE_1)
	s_and_b64 s[14:15], s[14:15], s[12:13]
	s_mul_i32 s15, s15, 24
	s_mul_hi_u32 s16, s14, 24
	s_mul_i32 s14, s14, 24
	s_add_i32 s16, s16, s15
	v_add_co_u32 v3, vcc_lo, v35, s14
	v_add_co_ci_u32_e32 v4, vcc_lo, s16, v36, vcc_lo
	s_mov_b32 s14, exec_lo
	global_store_b64 v[3:4], v[21:22], off
	s_waitcnt_vscnt null, 0x0
	global_atomic_cmpswap_b64 v[14:15], v16, v[19:22], s[2:3] offset:32 glc
	s_waitcnt vmcnt(0)
	v_cmpx_ne_u64_e64 v[14:15], v[21:22]
	s_cbranch_execz .LBB1_206
; %bb.204:                              ;   in Loop: Header=BB1_145 Depth=1
	s_mov_b32 s15, 0
.LBB1_205:                              ;   Parent Loop BB1_145 Depth=1
                                        ; =>  This Inner Loop Header: Depth=2
	v_dual_mov_b32 v12, s12 :: v_dual_mov_b32 v13, s13
	s_sleep 1
	global_store_b64 v[3:4], v[14:15], off
	s_waitcnt_vscnt null, 0x0
	global_atomic_cmpswap_b64 v[12:13], v16, v[12:15], s[2:3] offset:32 glc
	s_waitcnt vmcnt(0)
	v_cmp_eq_u64_e32 vcc_lo, v[12:13], v[14:15]
	v_dual_mov_b32 v15, v13 :: v_dual_mov_b32 v14, v12
	s_or_b32 s15, vcc_lo, s15
	s_delay_alu instid0(SALU_CYCLE_1)
	s_and_not1_b32 exec_lo, exec_lo, s15
	s_cbranch_execnz .LBB1_205
.LBB1_206:                              ;   in Loop: Header=BB1_145 Depth=1
	s_or_b32 exec_lo, exec_lo, s14
	global_load_b64 v[3:4], v16, s[2:3] offset:16
	s_mov_b32 s15, exec_lo
	s_mov_b32 s14, exec_lo
	v_mbcnt_lo_u32_b32 v12, s15, 0
	s_delay_alu instid0(VALU_DEP_1)
	v_cmpx_eq_u32_e32 0, v12
	s_cbranch_execz .LBB1_208
; %bb.207:                              ;   in Loop: Header=BB1_145 Depth=1
	s_bcnt1_i32_b32 s15, s15
	s_delay_alu instid0(SALU_CYCLE_1)
	v_mov_b32_e32 v15, s15
	s_waitcnt vmcnt(0)
	global_atomic_add_u64 v[3:4], v[15:16], off offset:8
.LBB1_208:                              ;   in Loop: Header=BB1_145 Depth=1
	s_or_b32 exec_lo, exec_lo, s14
	s_waitcnt vmcnt(0)
	global_load_b64 v[12:13], v[3:4], off offset:16
	s_waitcnt vmcnt(0)
	v_cmp_eq_u64_e32 vcc_lo, 0, v[12:13]
	s_cbranch_vccnz .LBB1_210
; %bb.209:                              ;   in Loop: Header=BB1_145 Depth=1
	global_load_b32 v15, v[3:4], off offset:24
	s_waitcnt vmcnt(0)
	v_and_b32_e32 v3, 0xffffff, v15
	s_waitcnt_vscnt null, 0x0
	global_store_b64 v[12:13], v[15:16], off
	v_readfirstlane_b32 m0, v3
	s_sendmsg sendmsg(MSG_INTERRUPT)
.LBB1_210:                              ;   in Loop: Header=BB1_145 Depth=1
	s_or_b32 exec_lo, exec_lo, s1
	v_add_co_u32 v3, vcc_lo, v37, v39
	v_add_co_ci_u32_e32 v4, vcc_lo, 0, v38, vcc_lo
	s_branch .LBB1_214
	.p2align	6
.LBB1_211:                              ;   in Loop: Header=BB1_214 Depth=2
	s_or_b32 exec_lo, exec_lo, s1
	s_delay_alu instid0(VALU_DEP_1) | instskip(NEXT) | instid1(VALU_DEP_1)
	v_readfirstlane_b32 s1, v12
	s_cmp_eq_u32 s1, 0
	s_cbranch_scc1 .LBB1_213
; %bb.212:                              ;   in Loop: Header=BB1_214 Depth=2
	s_sleep 1
	s_cbranch_execnz .LBB1_214
	s_branch .LBB1_216
	.p2align	6
.LBB1_213:                              ;   in Loop: Header=BB1_145 Depth=1
	s_branch .LBB1_216
.LBB1_214:                              ;   Parent Loop BB1_145 Depth=1
                                        ; =>  This Inner Loop Header: Depth=2
	v_mov_b32_e32 v12, 1
	s_and_saveexec_b32 s1, s0
	s_cbranch_execz .LBB1_211
; %bb.215:                              ;   in Loop: Header=BB1_214 Depth=2
	global_load_b32 v12, v[0:1], off offset:20 glc
	s_waitcnt vmcnt(0)
	buffer_gl1_inv
	buffer_gl0_inv
	v_and_b32_e32 v12, 1, v12
	s_branch .LBB1_211
.LBB1_216:                              ;   in Loop: Header=BB1_145 Depth=1
	global_load_b128 v[12:15], v[3:4], off
	s_and_saveexec_b32 s1, s0
	s_cbranch_execz .LBB1_144
; %bb.217:                              ;   in Loop: Header=BB1_145 Depth=1
	s_clause 0x2
	global_load_b64 v[0:1], v16, s[2:3] offset:40
	global_load_b64 v[3:4], v16, s[2:3] offset:24 glc
	global_load_b64 v[14:15], v16, s[2:3]
	s_waitcnt vmcnt(2)
	v_add_co_u32 v21, vcc_lo, v0, 1
	v_add_co_ci_u32_e32 v22, vcc_lo, 0, v1, vcc_lo
	s_delay_alu instid0(VALU_DEP_2) | instskip(NEXT) | instid1(VALU_DEP_2)
	v_add_co_u32 v19, vcc_lo, v21, s12
	v_add_co_ci_u32_e32 v20, vcc_lo, s13, v22, vcc_lo
	s_delay_alu instid0(VALU_DEP_1) | instskip(SKIP_3) | instid1(VALU_DEP_2)
	v_cmp_eq_u64_e32 vcc_lo, 0, v[19:20]
	v_dual_cndmask_b32 v20, v20, v22 :: v_dual_cndmask_b32 v19, v19, v21
	s_waitcnt vmcnt(1)
	v_mov_b32_e32 v22, v4
	v_and_b32_e32 v1, v20, v1
	s_delay_alu instid0(VALU_DEP_3) | instskip(NEXT) | instid1(VALU_DEP_2)
	v_and_b32_e32 v0, v19, v0
	v_mul_lo_u32 v1, v1, 24
	s_delay_alu instid0(VALU_DEP_2) | instskip(SKIP_1) | instid1(VALU_DEP_2)
	v_mul_hi_u32 v21, v0, 24
	v_mul_lo_u32 v0, v0, 24
	v_add_nc_u32_e32 v1, v21, v1
	s_waitcnt vmcnt(0)
	s_delay_alu instid0(VALU_DEP_2) | instskip(SKIP_1) | instid1(VALU_DEP_3)
	v_add_co_u32 v0, vcc_lo, v14, v0
	v_mov_b32_e32 v21, v3
	v_add_co_ci_u32_e32 v1, vcc_lo, v15, v1, vcc_lo
	global_store_b64 v[0:1], v[3:4], off
	s_waitcnt_vscnt null, 0x0
	global_atomic_cmpswap_b64 v[21:22], v16, v[19:22], s[2:3] offset:24 glc
	s_waitcnt vmcnt(0)
	v_cmp_ne_u64_e32 vcc_lo, v[21:22], v[3:4]
	s_and_b32 exec_lo, exec_lo, vcc_lo
	s_cbranch_execz .LBB1_144
; %bb.218:                              ;   in Loop: Header=BB1_145 Depth=1
	s_mov_b32 s0, 0
.LBB1_219:                              ;   Parent Loop BB1_145 Depth=1
                                        ; =>  This Inner Loop Header: Depth=2
	s_sleep 1
	global_store_b64 v[0:1], v[21:22], off
	s_waitcnt_vscnt null, 0x0
	global_atomic_cmpswap_b64 v[3:4], v16, v[19:22], s[2:3] offset:24 glc
	s_waitcnt vmcnt(0)
	v_cmp_eq_u64_e32 vcc_lo, v[3:4], v[21:22]
	v_dual_mov_b32 v22, v4 :: v_dual_mov_b32 v21, v3
	s_or_b32 s0, vcc_lo, s0
	s_delay_alu instid0(SALU_CYCLE_1)
	s_and_not1_b32 exec_lo, exec_lo, s0
	s_cbranch_execnz .LBB1_219
	s_branch .LBB1_144
.LBB1_220:
                                        ; implicit-def: $vgpr12_vgpr13
	s_cbranch_execnz .LBB1_222
	s_branch .LBB1_249
.LBB1_221:
	s_branch .LBB1_249
.LBB1_222:
	v_readfirstlane_b32 s0, v48
	v_mov_b32_e32 v0, 0
	v_mov_b32_e32 v1, 0
	s_delay_alu instid0(VALU_DEP_3) | instskip(NEXT) | instid1(VALU_DEP_1)
	v_cmp_eq_u32_e64 s0, s0, v48
	s_and_saveexec_b32 s1, s0
	s_cbranch_execz .LBB1_228
; %bb.223:
	v_mov_b32_e32 v3, 0
	s_mov_b32 s4, exec_lo
	global_load_b64 v[14:15], v3, s[2:3] offset:24 glc
	s_waitcnt vmcnt(0)
	buffer_gl1_inv
	buffer_gl0_inv
	s_clause 0x1
	global_load_b64 v[0:1], v3, s[2:3] offset:40
	global_load_b64 v[4:5], v3, s[2:3]
	s_waitcnt vmcnt(1)
	v_and_b32_e32 v0, v0, v14
	v_and_b32_e32 v1, v1, v15
	s_delay_alu instid0(VALU_DEP_2) | instskip(NEXT) | instid1(VALU_DEP_2)
	v_mul_hi_u32 v12, v0, 24
	v_mul_lo_u32 v1, v1, 24
	v_mul_lo_u32 v0, v0, 24
	s_delay_alu instid0(VALU_DEP_2) | instskip(SKIP_1) | instid1(VALU_DEP_2)
	v_add_nc_u32_e32 v1, v12, v1
	s_waitcnt vmcnt(0)
	v_add_co_u32 v0, vcc_lo, v4, v0
	s_delay_alu instid0(VALU_DEP_2)
	v_add_co_ci_u32_e32 v1, vcc_lo, v5, v1, vcc_lo
	global_load_b64 v[12:13], v[0:1], off glc
	s_waitcnt vmcnt(0)
	global_atomic_cmpswap_b64 v[0:1], v3, v[12:15], s[2:3] offset:24 glc
	s_waitcnt vmcnt(0)
	buffer_gl1_inv
	buffer_gl0_inv
	v_cmpx_ne_u64_e64 v[0:1], v[14:15]
	s_cbranch_execz .LBB1_227
; %bb.224:
	s_mov_b32 s5, 0
	.p2align	6
.LBB1_225:                              ; =>This Inner Loop Header: Depth=1
	s_sleep 1
	s_clause 0x1
	global_load_b64 v[4:5], v3, s[2:3] offset:40
	global_load_b64 v[12:13], v3, s[2:3]
	v_dual_mov_b32 v15, v1 :: v_dual_mov_b32 v14, v0
	s_waitcnt vmcnt(1)
	s_delay_alu instid0(VALU_DEP_1) | instskip(SKIP_1) | instid1(VALU_DEP_1)
	v_and_b32_e32 v4, v4, v14
	s_waitcnt vmcnt(0)
	v_mad_u64_u32 v[0:1], null, v4, 24, v[12:13]
	v_and_b32_e32 v12, v5, v15
	s_delay_alu instid0(VALU_DEP_1) | instskip(NEXT) | instid1(VALU_DEP_1)
	v_mad_u64_u32 v[4:5], null, v12, 24, v[1:2]
	v_mov_b32_e32 v1, v4
	global_load_b64 v[12:13], v[0:1], off glc
	s_waitcnt vmcnt(0)
	global_atomic_cmpswap_b64 v[0:1], v3, v[12:15], s[2:3] offset:24 glc
	s_waitcnt vmcnt(0)
	buffer_gl1_inv
	buffer_gl0_inv
	v_cmp_eq_u64_e32 vcc_lo, v[0:1], v[14:15]
	s_or_b32 s5, vcc_lo, s5
	s_delay_alu instid0(SALU_CYCLE_1)
	s_and_not1_b32 exec_lo, exec_lo, s5
	s_cbranch_execnz .LBB1_225
; %bb.226:
	s_or_b32 exec_lo, exec_lo, s5
.LBB1_227:
	s_delay_alu instid0(SALU_CYCLE_1)
	s_or_b32 exec_lo, exec_lo, s4
.LBB1_228:
	s_delay_alu instid0(SALU_CYCLE_1)
	s_or_b32 exec_lo, exec_lo, s1
	s_waitcnt vmcnt(0)
	v_mov_b32_e32 v12, 0
	v_readfirstlane_b32 s4, v0
	v_readfirstlane_b32 s5, v1
	s_mov_b32 s1, exec_lo
	s_clause 0x1
	global_load_b64 v[3:4], v12, s[2:3] offset:40
	global_load_b128 v[14:17], v12, s[2:3]
	s_waitcnt vmcnt(1)
	v_readfirstlane_b32 s6, v3
	v_readfirstlane_b32 s7, v4
	s_delay_alu instid0(VALU_DEP_1) | instskip(NEXT) | instid1(SALU_CYCLE_1)
	s_and_b64 s[6:7], s[4:5], s[6:7]
	s_mul_i32 s10, s7, 24
	s_mul_hi_u32 s11, s6, 24
	s_mul_i32 s12, s6, 24
	s_add_i32 s11, s11, s10
	s_waitcnt vmcnt(0)
	v_add_co_u32 v0, vcc_lo, v14, s12
	v_add_co_ci_u32_e32 v1, vcc_lo, s11, v15, vcc_lo
	s_and_saveexec_b32 s10, s0
	s_cbranch_execz .LBB1_230
; %bb.229:
	v_dual_mov_b32 v18, s1 :: v_dual_mov_b32 v19, v12
	v_dual_mov_b32 v20, 2 :: v_dual_mov_b32 v21, 1
	global_store_b128 v[0:1], v[18:21], off offset:8
.LBB1_230:
	s_or_b32 exec_lo, exec_lo, s10
	s_lshl_b64 s[6:7], s[6:7], 12
	s_mov_b32 s12, 0
	v_add_co_u32 v3, vcc_lo, v16, s6
	v_add_co_ci_u32_e32 v4, vcc_lo, s7, v17, vcc_lo
	s_mov_b32 s15, s12
	s_delay_alu instid0(VALU_DEP_2)
	v_readfirstlane_b32 s6, v3
	v_add_co_u32 v3, vcc_lo, v3, v39
	s_mov_b32 s13, s12
	s_mov_b32 s14, s12
	v_and_or_b32 v10, 0xffffff1f, v10, 32
	v_mov_b32_e32 v13, v12
	v_readfirstlane_b32 s7, v4
	v_dual_mov_b32 v19, s15 :: v_dual_mov_b32 v16, s12
	v_add_co_ci_u32_e32 v4, vcc_lo, 0, v4, vcc_lo
	v_dual_mov_b32 v18, s14 :: v_dual_mov_b32 v17, s13
	s_clause 0x3
	global_store_b128 v39, v[10:13], s[6:7]
	global_store_b128 v39, v[16:19], s[6:7] offset:16
	global_store_b128 v39, v[16:19], s[6:7] offset:32
	;; [unrolled: 1-line block ×3, first 2 shown]
	s_and_saveexec_b32 s1, s0
	s_cbranch_execz .LBB1_238
; %bb.231:
	v_dual_mov_b32 v5, 0 :: v_dual_mov_b32 v16, s4
	v_mov_b32_e32 v17, s5
	s_clause 0x1
	global_load_b64 v[18:19], v5, s[2:3] offset:32 glc
	global_load_b64 v[10:11], v5, s[2:3] offset:40
	s_waitcnt vmcnt(0)
	v_readfirstlane_b32 s6, v10
	v_readfirstlane_b32 s7, v11
	s_delay_alu instid0(VALU_DEP_1) | instskip(NEXT) | instid1(SALU_CYCLE_1)
	s_and_b64 s[6:7], s[6:7], s[4:5]
	s_mul_i32 s7, s7, 24
	s_mul_hi_u32 s10, s6, 24
	s_mul_i32 s6, s6, 24
	s_add_i32 s10, s10, s7
	v_add_co_u32 v14, vcc_lo, v14, s6
	v_add_co_ci_u32_e32 v15, vcc_lo, s10, v15, vcc_lo
	s_mov_b32 s6, exec_lo
	global_store_b64 v[14:15], v[18:19], off
	s_waitcnt_vscnt null, 0x0
	global_atomic_cmpswap_b64 v[12:13], v5, v[16:19], s[2:3] offset:32 glc
	s_waitcnt vmcnt(0)
	v_cmpx_ne_u64_e64 v[12:13], v[18:19]
	s_cbranch_execz .LBB1_234
; %bb.232:
	s_mov_b32 s7, 0
.LBB1_233:                              ; =>This Inner Loop Header: Depth=1
	v_dual_mov_b32 v10, s4 :: v_dual_mov_b32 v11, s5
	s_sleep 1
	global_store_b64 v[14:15], v[12:13], off
	s_waitcnt_vscnt null, 0x0
	global_atomic_cmpswap_b64 v[10:11], v5, v[10:13], s[2:3] offset:32 glc
	s_waitcnt vmcnt(0)
	v_cmp_eq_u64_e32 vcc_lo, v[10:11], v[12:13]
	v_dual_mov_b32 v13, v11 :: v_dual_mov_b32 v12, v10
	s_or_b32 s7, vcc_lo, s7
	s_delay_alu instid0(SALU_CYCLE_1)
	s_and_not1_b32 exec_lo, exec_lo, s7
	s_cbranch_execnz .LBB1_233
.LBB1_234:
	s_or_b32 exec_lo, exec_lo, s6
	v_mov_b32_e32 v13, 0
	s_mov_b32 s7, exec_lo
	s_mov_b32 s6, exec_lo
	v_mbcnt_lo_u32_b32 v5, s7, 0
	global_load_b64 v[10:11], v13, s[2:3] offset:16
	v_cmpx_eq_u32_e32 0, v5
	s_cbranch_execz .LBB1_236
; %bb.235:
	s_bcnt1_i32_b32 s7, s7
	s_delay_alu instid0(SALU_CYCLE_1)
	v_mov_b32_e32 v12, s7
	s_waitcnt vmcnt(0)
	global_atomic_add_u64 v[10:11], v[12:13], off offset:8
.LBB1_236:
	s_or_b32 exec_lo, exec_lo, s6
	s_waitcnt vmcnt(0)
	global_load_b64 v[12:13], v[10:11], off offset:16
	s_waitcnt vmcnt(0)
	v_cmp_eq_u64_e32 vcc_lo, 0, v[12:13]
	s_cbranch_vccnz .LBB1_238
; %bb.237:
	global_load_b32 v10, v[10:11], off offset:24
	v_mov_b32_e32 v11, 0
	s_waitcnt vmcnt(0)
	v_and_b32_e32 v5, 0xffffff, v10
	s_waitcnt_vscnt null, 0x0
	global_store_b64 v[12:13], v[10:11], off
	v_readfirstlane_b32 m0, v5
	s_sendmsg sendmsg(MSG_INTERRUPT)
.LBB1_238:
	s_or_b32 exec_lo, exec_lo, s1
	s_branch .LBB1_242
	.p2align	6
.LBB1_239:                              ;   in Loop: Header=BB1_242 Depth=1
	s_or_b32 exec_lo, exec_lo, s1
	s_delay_alu instid0(VALU_DEP_1) | instskip(NEXT) | instid1(VALU_DEP_1)
	v_readfirstlane_b32 s1, v5
	s_cmp_eq_u32 s1, 0
	s_cbranch_scc1 .LBB1_241
; %bb.240:                              ;   in Loop: Header=BB1_242 Depth=1
	s_sleep 1
	s_cbranch_execnz .LBB1_242
	s_branch .LBB1_244
	.p2align	6
.LBB1_241:
	s_branch .LBB1_244
.LBB1_242:                              ; =>This Inner Loop Header: Depth=1
	v_mov_b32_e32 v5, 1
	s_and_saveexec_b32 s1, s0
	s_cbranch_execz .LBB1_239
; %bb.243:                              ;   in Loop: Header=BB1_242 Depth=1
	global_load_b32 v5, v[0:1], off offset:20 glc
	s_waitcnt vmcnt(0)
	buffer_gl1_inv
	buffer_gl0_inv
	v_and_b32_e32 v5, 1, v5
	s_branch .LBB1_239
.LBB1_244:
	global_load_b64 v[12:13], v[3:4], off
	s_and_saveexec_b32 s1, s0
	s_cbranch_execz .LBB1_248
; %bb.245:
	v_mov_b32_e32 v3, 0
	s_clause 0x2
	global_load_b64 v[0:1], v3, s[2:3] offset:40
	global_load_b64 v[4:5], v3, s[2:3] offset:24 glc
	global_load_b64 v[10:11], v3, s[2:3]
	s_waitcnt vmcnt(2)
	v_add_co_u32 v16, vcc_lo, v0, 1
	v_add_co_ci_u32_e32 v17, vcc_lo, 0, v1, vcc_lo
	s_delay_alu instid0(VALU_DEP_2) | instskip(NEXT) | instid1(VALU_DEP_2)
	v_add_co_u32 v14, vcc_lo, v16, s4
	v_add_co_ci_u32_e32 v15, vcc_lo, s5, v17, vcc_lo
	s_delay_alu instid0(VALU_DEP_1) | instskip(SKIP_2) | instid1(VALU_DEP_1)
	v_cmp_eq_u64_e32 vcc_lo, 0, v[14:15]
	v_dual_cndmask_b32 v14, v14, v16 :: v_dual_cndmask_b32 v15, v15, v17
	s_waitcnt vmcnt(1)
	v_dual_mov_b32 v17, v5 :: v_dual_and_b32 v0, v14, v0
	s_delay_alu instid0(VALU_DEP_2) | instskip(NEXT) | instid1(VALU_DEP_2)
	v_and_b32_e32 v1, v15, v1
	v_mul_hi_u32 v16, v0, 24
	s_delay_alu instid0(VALU_DEP_2) | instskip(SKIP_1) | instid1(VALU_DEP_2)
	v_mul_lo_u32 v1, v1, 24
	v_mul_lo_u32 v0, v0, 24
	v_add_nc_u32_e32 v1, v16, v1
	v_mov_b32_e32 v16, v4
	s_waitcnt vmcnt(0)
	s_delay_alu instid0(VALU_DEP_3) | instskip(NEXT) | instid1(VALU_DEP_3)
	v_add_co_u32 v0, vcc_lo, v10, v0
	v_add_co_ci_u32_e32 v1, vcc_lo, v11, v1, vcc_lo
	global_store_b64 v[0:1], v[4:5], off
	s_waitcnt_vscnt null, 0x0
	global_atomic_cmpswap_b64 v[16:17], v3, v[14:17], s[2:3] offset:24 glc
	s_waitcnt vmcnt(0)
	v_cmp_ne_u64_e32 vcc_lo, v[16:17], v[4:5]
	s_and_b32 exec_lo, exec_lo, vcc_lo
	s_cbranch_execz .LBB1_248
; %bb.246:
	s_mov_b32 s0, 0
.LBB1_247:                              ; =>This Inner Loop Header: Depth=1
	s_sleep 1
	global_store_b64 v[0:1], v[16:17], off
	s_waitcnt_vscnt null, 0x0
	global_atomic_cmpswap_b64 v[4:5], v3, v[14:17], s[2:3] offset:24 glc
	s_waitcnt vmcnt(0)
	v_cmp_eq_u64_e32 vcc_lo, v[4:5], v[16:17]
	v_dual_mov_b32 v17, v5 :: v_dual_mov_b32 v16, v4
	s_or_b32 s0, vcc_lo, s0
	s_delay_alu instid0(SALU_CYCLE_1)
	s_and_not1_b32 exec_lo, exec_lo, s0
	s_cbranch_execnz .LBB1_247
.LBB1_248:
	s_or_b32 exec_lo, exec_lo, s1
.LBB1_249:
	v_readfirstlane_b32 s0, v48
	v_mov_b32_e32 v0, 0
	v_mov_b32_e32 v1, 0
	s_delay_alu instid0(VALU_DEP_3) | instskip(NEXT) | instid1(VALU_DEP_1)
	v_cmp_eq_u32_e64 s0, s0, v48
	s_and_saveexec_b32 s1, s0
	s_cbranch_execz .LBB1_255
; %bb.250:
	v_mov_b32_e32 v3, 0
	s_mov_b32 s4, exec_lo
	global_load_b64 v[16:17], v3, s[2:3] offset:24 glc
	s_waitcnt vmcnt(0)
	buffer_gl1_inv
	buffer_gl0_inv
	s_clause 0x1
	global_load_b64 v[0:1], v3, s[2:3] offset:40
	global_load_b64 v[4:5], v3, s[2:3]
	s_waitcnt vmcnt(1)
	v_and_b32_e32 v0, v0, v16
	v_and_b32_e32 v1, v1, v17
	s_delay_alu instid0(VALU_DEP_2) | instskip(NEXT) | instid1(VALU_DEP_2)
	v_mul_hi_u32 v10, v0, 24
	v_mul_lo_u32 v1, v1, 24
	v_mul_lo_u32 v0, v0, 24
	s_delay_alu instid0(VALU_DEP_2) | instskip(SKIP_1) | instid1(VALU_DEP_2)
	v_add_nc_u32_e32 v1, v10, v1
	s_waitcnt vmcnt(0)
	v_add_co_u32 v0, vcc_lo, v4, v0
	s_delay_alu instid0(VALU_DEP_2)
	v_add_co_ci_u32_e32 v1, vcc_lo, v5, v1, vcc_lo
	global_load_b64 v[14:15], v[0:1], off glc
	s_waitcnt vmcnt(0)
	global_atomic_cmpswap_b64 v[0:1], v3, v[14:17], s[2:3] offset:24 glc
	s_waitcnt vmcnt(0)
	buffer_gl1_inv
	buffer_gl0_inv
	v_cmpx_ne_u64_e64 v[0:1], v[16:17]
	s_cbranch_execz .LBB1_254
; %bb.251:
	s_mov_b32 s5, 0
	.p2align	6
.LBB1_252:                              ; =>This Inner Loop Header: Depth=1
	s_sleep 1
	s_clause 0x1
	global_load_b64 v[4:5], v3, s[2:3] offset:40
	global_load_b64 v[10:11], v3, s[2:3]
	v_dual_mov_b32 v17, v1 :: v_dual_mov_b32 v16, v0
	s_waitcnt vmcnt(1)
	s_delay_alu instid0(VALU_DEP_1) | instskip(SKIP_1) | instid1(VALU_DEP_1)
	v_and_b32_e32 v4, v4, v16
	s_waitcnt vmcnt(0)
	v_mad_u64_u32 v[0:1], null, v4, 24, v[10:11]
	v_and_b32_e32 v10, v5, v17
	s_delay_alu instid0(VALU_DEP_1) | instskip(NEXT) | instid1(VALU_DEP_1)
	v_mad_u64_u32 v[4:5], null, v10, 24, v[1:2]
	v_mov_b32_e32 v1, v4
	global_load_b64 v[14:15], v[0:1], off glc
	s_waitcnt vmcnt(0)
	global_atomic_cmpswap_b64 v[0:1], v3, v[14:17], s[2:3] offset:24 glc
	s_waitcnt vmcnt(0)
	buffer_gl1_inv
	buffer_gl0_inv
	v_cmp_eq_u64_e32 vcc_lo, v[0:1], v[16:17]
	s_or_b32 s5, vcc_lo, s5
	s_delay_alu instid0(SALU_CYCLE_1)
	s_and_not1_b32 exec_lo, exec_lo, s5
	s_cbranch_execnz .LBB1_252
; %bb.253:
	s_or_b32 exec_lo, exec_lo, s5
.LBB1_254:
	s_delay_alu instid0(SALU_CYCLE_1)
	s_or_b32 exec_lo, exec_lo, s4
.LBB1_255:
	s_delay_alu instid0(SALU_CYCLE_1)
	s_or_b32 exec_lo, exec_lo, s1
	s_waitcnt vmcnt(0)
	v_mov_b32_e32 v15, 0
	v_readfirstlane_b32 s4, v0
	v_readfirstlane_b32 s5, v1
	s_mov_b32 s1, exec_lo
	s_clause 0x1
	global_load_b64 v[3:4], v15, s[2:3] offset:40
	global_load_b128 v[16:19], v15, s[2:3]
	s_waitcnt vmcnt(1)
	v_readfirstlane_b32 s6, v3
	v_readfirstlane_b32 s7, v4
	s_delay_alu instid0(VALU_DEP_1) | instskip(NEXT) | instid1(SALU_CYCLE_1)
	s_and_b64 s[6:7], s[4:5], s[6:7]
	s_mul_i32 s10, s7, 24
	s_mul_hi_u32 s11, s6, 24
	s_mul_i32 s12, s6, 24
	s_add_i32 s11, s11, s10
	s_waitcnt vmcnt(0)
	v_add_co_u32 v4, vcc_lo, v16, s12
	v_add_co_ci_u32_e32 v5, vcc_lo, s11, v17, vcc_lo
	s_and_saveexec_b32 s10, s0
	s_cbranch_execz .LBB1_257
; %bb.256:
	v_dual_mov_b32 v14, s1 :: v_dual_mov_b32 v23, 1
	v_dual_mov_b32 v22, 2 :: v_dual_mov_b32 v21, v15
	s_delay_alu instid0(VALU_DEP_2)
	v_mov_b32_e32 v20, v14
	global_store_b128 v[4:5], v[20:23], off offset:8
.LBB1_257:
	s_or_b32 exec_lo, exec_lo, s10
	s_lshl_b64 s[6:7], s[6:7], 12
	s_mov_b32 s12, 0
	v_add_co_u32 v10, vcc_lo, v18, s6
	v_add_co_ci_u32_e32 v11, vcc_lo, s7, v19, vcc_lo
	s_mov_b32 s13, s12
	s_delay_alu instid0(VALU_DEP_2)
	v_readfirstlane_b32 s6, v10
	v_add_co_u32 v10, vcc_lo, v10, v39
	s_mov_b32 s14, s12
	s_mov_b32 s15, s12
	v_and_or_b32 v12, 0xffffff1f, v12, 32
	v_mov_b32_e32 v14, v2
	v_readfirstlane_b32 s7, v11
	v_dual_mov_b32 v0, s12 :: v_dual_mov_b32 v3, s15
	v_add_co_ci_u32_e32 v11, vcc_lo, 0, v11, vcc_lo
	v_dual_mov_b32 v1, s13 :: v_dual_mov_b32 v2, s14
	s_clause 0x3
	global_store_b128 v39, v[12:15], s[6:7]
	global_store_b128 v39, v[0:3], s[6:7] offset:16
	global_store_b128 v39, v[0:3], s[6:7] offset:32
	;; [unrolled: 1-line block ×3, first 2 shown]
	s_and_saveexec_b32 s1, s0
	s_cbranch_execz .LBB1_265
; %bb.258:
	v_mov_b32_e32 v14, 0
	s_clause 0x1
	global_load_b64 v[18:19], v14, s[2:3] offset:32 glc
	global_load_b64 v[0:1], v14, s[2:3] offset:40
	s_waitcnt vmcnt(0)
	v_readfirstlane_b32 s6, v0
	v_readfirstlane_b32 s7, v1
	s_delay_alu instid0(VALU_DEP_1) | instskip(NEXT) | instid1(SALU_CYCLE_1)
	s_and_b64 s[6:7], s[6:7], s[4:5]
	s_mul_i32 s7, s7, 24
	s_mul_hi_u32 s10, s6, 24
	s_mul_i32 s6, s6, 24
	s_add_i32 s10, s10, s7
	v_add_co_u32 v12, vcc_lo, v16, s6
	v_add_co_ci_u32_e32 v13, vcc_lo, s10, v17, vcc_lo
	v_dual_mov_b32 v17, s5 :: v_dual_mov_b32 v16, s4
	s_mov_b32 s6, exec_lo
	global_store_b64 v[12:13], v[18:19], off
	s_waitcnt_vscnt null, 0x0
	global_atomic_cmpswap_b64 v[2:3], v14, v[16:19], s[2:3] offset:32 glc
	s_waitcnt vmcnt(0)
	v_cmpx_ne_u64_e64 v[2:3], v[18:19]
	s_cbranch_execz .LBB1_261
; %bb.259:
	s_mov_b32 s7, 0
.LBB1_260:                              ; =>This Inner Loop Header: Depth=1
	v_dual_mov_b32 v0, s4 :: v_dual_mov_b32 v1, s5
	s_sleep 1
	global_store_b64 v[12:13], v[2:3], off
	s_waitcnt_vscnt null, 0x0
	global_atomic_cmpswap_b64 v[0:1], v14, v[0:3], s[2:3] offset:32 glc
	s_waitcnt vmcnt(0)
	v_cmp_eq_u64_e32 vcc_lo, v[0:1], v[2:3]
	v_dual_mov_b32 v3, v1 :: v_dual_mov_b32 v2, v0
	s_or_b32 s7, vcc_lo, s7
	s_delay_alu instid0(SALU_CYCLE_1)
	s_and_not1_b32 exec_lo, exec_lo, s7
	s_cbranch_execnz .LBB1_260
.LBB1_261:
	s_or_b32 exec_lo, exec_lo, s6
	v_mov_b32_e32 v3, 0
	s_mov_b32 s7, exec_lo
	s_mov_b32 s6, exec_lo
	v_mbcnt_lo_u32_b32 v2, s7, 0
	global_load_b64 v[0:1], v3, s[2:3] offset:16
	v_cmpx_eq_u32_e32 0, v2
	s_cbranch_execz .LBB1_263
; %bb.262:
	s_bcnt1_i32_b32 s7, s7
	s_delay_alu instid0(SALU_CYCLE_1)
	v_mov_b32_e32 v2, s7
	s_waitcnt vmcnt(0)
	global_atomic_add_u64 v[0:1], v[2:3], off offset:8
.LBB1_263:
	s_or_b32 exec_lo, exec_lo, s6
	s_waitcnt vmcnt(0)
	global_load_b64 v[2:3], v[0:1], off offset:16
	s_waitcnt vmcnt(0)
	v_cmp_eq_u64_e32 vcc_lo, 0, v[2:3]
	s_cbranch_vccnz .LBB1_265
; %bb.264:
	global_load_b32 v0, v[0:1], off offset:24
	s_waitcnt vmcnt(0)
	v_dual_mov_b32 v1, 0 :: v_dual_and_b32 v12, 0xffffff, v0
	s_waitcnt_vscnt null, 0x0
	global_store_b64 v[2:3], v[0:1], off
	v_readfirstlane_b32 m0, v12
	s_sendmsg sendmsg(MSG_INTERRUPT)
.LBB1_265:
	s_or_b32 exec_lo, exec_lo, s1
	s_branch .LBB1_269
	.p2align	6
.LBB1_266:                              ;   in Loop: Header=BB1_269 Depth=1
	s_or_b32 exec_lo, exec_lo, s1
	s_delay_alu instid0(VALU_DEP_1) | instskip(NEXT) | instid1(VALU_DEP_1)
	v_readfirstlane_b32 s1, v0
	s_cmp_eq_u32 s1, 0
	s_cbranch_scc1 .LBB1_268
; %bb.267:                              ;   in Loop: Header=BB1_269 Depth=1
	s_sleep 1
	s_cbranch_execnz .LBB1_269
	s_branch .LBB1_271
	.p2align	6
.LBB1_268:
	s_branch .LBB1_271
.LBB1_269:                              ; =>This Inner Loop Header: Depth=1
	v_mov_b32_e32 v0, 1
	s_and_saveexec_b32 s1, s0
	s_cbranch_execz .LBB1_266
; %bb.270:                              ;   in Loop: Header=BB1_269 Depth=1
	global_load_b32 v0, v[4:5], off offset:20 glc
	s_waitcnt vmcnt(0)
	buffer_gl1_inv
	buffer_gl0_inv
	v_and_b32_e32 v0, 1, v0
	s_branch .LBB1_266
.LBB1_271:
	global_load_b64 v[0:1], v[10:11], off
	s_and_saveexec_b32 s1, s0
	s_cbranch_execz .LBB1_275
; %bb.272:
	v_mov_b32_e32 v12, 0
	s_clause 0x2
	global_load_b64 v[4:5], v12, s[2:3] offset:40
	global_load_b64 v[13:14], v12, s[2:3] offset:24 glc
	global_load_b64 v[10:11], v12, s[2:3]
	s_waitcnt vmcnt(2)
	v_add_co_u32 v15, vcc_lo, v4, 1
	v_add_co_ci_u32_e32 v16, vcc_lo, 0, v5, vcc_lo
	s_delay_alu instid0(VALU_DEP_2) | instskip(NEXT) | instid1(VALU_DEP_2)
	v_add_co_u32 v2, vcc_lo, v15, s4
	v_add_co_ci_u32_e32 v3, vcc_lo, s5, v16, vcc_lo
	s_delay_alu instid0(VALU_DEP_1) | instskip(SKIP_1) | instid1(VALU_DEP_1)
	v_cmp_eq_u64_e32 vcc_lo, 0, v[2:3]
	v_dual_cndmask_b32 v3, v3, v16 :: v_dual_cndmask_b32 v2, v2, v15
	v_and_b32_e32 v5, v3, v5
	s_delay_alu instid0(VALU_DEP_2) | instskip(NEXT) | instid1(VALU_DEP_2)
	v_and_b32_e32 v4, v2, v4
	v_mul_lo_u32 v5, v5, 24
	s_delay_alu instid0(VALU_DEP_2) | instskip(SKIP_1) | instid1(VALU_DEP_2)
	v_mul_hi_u32 v15, v4, 24
	v_mul_lo_u32 v4, v4, 24
	v_add_nc_u32_e32 v5, v15, v5
	s_waitcnt vmcnt(0)
	s_delay_alu instid0(VALU_DEP_2) | instskip(SKIP_1) | instid1(VALU_DEP_3)
	v_add_co_u32 v10, vcc_lo, v10, v4
	v_mov_b32_e32 v4, v13
	v_add_co_ci_u32_e32 v11, vcc_lo, v11, v5, vcc_lo
	v_mov_b32_e32 v5, v14
	global_store_b64 v[10:11], v[13:14], off
	s_waitcnt_vscnt null, 0x0
	global_atomic_cmpswap_b64 v[4:5], v12, v[2:5], s[2:3] offset:24 glc
	s_waitcnt vmcnt(0)
	v_cmp_ne_u64_e32 vcc_lo, v[4:5], v[13:14]
	s_and_b32 exec_lo, exec_lo, vcc_lo
	s_cbranch_execz .LBB1_275
; %bb.273:
	s_mov_b32 s0, 0
.LBB1_274:                              ; =>This Inner Loop Header: Depth=1
	s_sleep 1
	global_store_b64 v[10:11], v[4:5], off
	s_waitcnt_vscnt null, 0x0
	global_atomic_cmpswap_b64 v[13:14], v12, v[2:5], s[2:3] offset:24 glc
	s_waitcnt vmcnt(0)
	v_cmp_eq_u64_e32 vcc_lo, v[13:14], v[4:5]
	v_dual_mov_b32 v4, v13 :: v_dual_mov_b32 v5, v14
	s_or_b32 s0, vcc_lo, s0
	s_delay_alu instid0(SALU_CYCLE_1)
	s_and_not1_b32 exec_lo, exec_lo, s0
	s_cbranch_execnz .LBB1_274
.LBB1_275:
	s_or_b32 exec_lo, exec_lo, s1
	v_dual_mov_b32 v3, v6 :: v_dual_mov_b32 v4, v7
	s_mov_b32 s0, 0
.LBB1_276:                              ; =>This Inner Loop Header: Depth=1
	flat_load_u8 v5, v[3:4]
	v_add_co_u32 v2, vcc_lo, v3, 1
	v_add_co_ci_u32_e32 v3, vcc_lo, 0, v4, vcc_lo
	s_delay_alu instid0(VALU_DEP_1) | instskip(NEXT) | instid1(VALU_DEP_3)
	v_mov_b32_e32 v4, v3
	v_mov_b32_e32 v3, v2
	s_waitcnt vmcnt(0) lgkmcnt(0)
	v_cmp_eq_u16_e32 vcc_lo, 0, v5
	s_or_b32 s0, vcc_lo, s0
	s_delay_alu instid0(SALU_CYCLE_1)
	s_and_not1_b32 exec_lo, exec_lo, s0
	s_cbranch_execnz .LBB1_276
; %bb.277:
	s_or_b32 exec_lo, exec_lo, s0
	s_delay_alu instid0(SALU_CYCLE_1)
	s_mov_b32 s0, exec_lo
	v_cmpx_ne_u64_e32 0, v[6:7]
	s_xor_b32 s10, exec_lo, s0
	s_cbranch_execz .LBB1_363
; %bb.278:
	v_sub_nc_u32_e32 v30, v2, v6
	v_dual_mov_b32 v11, 0 :: v_dual_and_b32 v34, 2, v0
	v_dual_mov_b32 v13, 1 :: v_dual_and_b32 v0, -3, v0
	v_mov_b32_e32 v12, 2
	s_delay_alu instid0(VALU_DEP_4)
	v_ashrrev_i32_e32 v31, 31, v30
	s_mov_b32 s12, 0
	s_mov_b32 s11, 0
	s_branch .LBB1_280
.LBB1_279:                              ;   in Loop: Header=BB1_280 Depth=1
	s_or_b32 exec_lo, exec_lo, s1
	v_sub_co_u32 v30, vcc_lo, v30, v32
	v_sub_co_ci_u32_e32 v31, vcc_lo, v31, v33, vcc_lo
	v_add_co_u32 v6, s0, v6, v32
	s_delay_alu instid0(VALU_DEP_1) | instskip(NEXT) | instid1(VALU_DEP_3)
	v_add_co_ci_u32_e64 v7, s0, v7, v33, s0
	v_cmp_eq_u64_e32 vcc_lo, 0, v[30:31]
	s_or_b32 s11, vcc_lo, s11
	s_delay_alu instid0(SALU_CYCLE_1)
	s_and_not1_b32 exec_lo, exec_lo, s11
	s_cbranch_execz .LBB1_362
.LBB1_280:                              ; =>This Loop Header: Depth=1
                                        ;     Child Loop BB1_283 Depth 2
                                        ;     Child Loop BB1_291 Depth 2
	;; [unrolled: 1-line block ×11, first 2 shown]
	s_delay_alu instid0(VALU_DEP_1)
	v_cmp_gt_u64_e32 vcc_lo, 56, v[30:31]
	s_mov_b32 s1, exec_lo
                                        ; implicit-def: $vgpr2_vgpr3
                                        ; implicit-def: $sgpr4
	v_dual_cndmask_b32 v33, 0, v31 :: v_dual_cndmask_b32 v32, 56, v30
	v_cmpx_gt_u64_e32 8, v[30:31]
	s_xor_b32 s1, exec_lo, s1
	s_cbranch_execz .LBB1_286
; %bb.281:                              ;   in Loop: Header=BB1_280 Depth=1
	s_waitcnt vmcnt(0)
	v_mov_b32_e32 v2, 0
	v_mov_b32_e32 v3, 0
	s_mov_b64 s[4:5], 0
	s_mov_b32 s6, exec_lo
	v_cmpx_ne_u64_e32 0, v[30:31]
	s_cbranch_execz .LBB1_285
; %bb.282:                              ;   in Loop: Header=BB1_280 Depth=1
	v_lshlrev_b64 v[4:5], 3, v[32:33]
	v_dual_mov_b32 v2, 0 :: v_dual_mov_b32 v15, v7
	v_dual_mov_b32 v3, 0 :: v_dual_mov_b32 v14, v6
	s_mov_b32 s7, 0
	.p2align	6
.LBB1_283:                              ;   Parent Loop BB1_280 Depth=1
                                        ; =>  This Inner Loop Header: Depth=2
	flat_load_u8 v5, v[14:15]
	v_mov_b32_e32 v17, s12
	v_add_co_u32 v14, vcc_lo, v14, 1
	v_add_co_ci_u32_e32 v15, vcc_lo, 0, v15, vcc_lo
	s_waitcnt vmcnt(0) lgkmcnt(0)
	v_and_b32_e32 v16, 0xffff, v5
	s_delay_alu instid0(VALU_DEP_1) | instskip(SKIP_3) | instid1(VALU_DEP_2)
	v_lshlrev_b64 v[16:17], s4, v[16:17]
	s_add_u32 s4, s4, 8
	s_addc_u32 s5, s5, 0
	v_cmp_eq_u32_e64 s0, s4, v4
	v_or_b32_e32 v3, v17, v3
	s_delay_alu instid0(VALU_DEP_3) | instskip(NEXT) | instid1(VALU_DEP_3)
	v_or_b32_e32 v2, v16, v2
	s_or_b32 s7, s0, s7
	s_delay_alu instid0(SALU_CYCLE_1)
	s_and_not1_b32 exec_lo, exec_lo, s7
	s_cbranch_execnz .LBB1_283
; %bb.284:                              ;   in Loop: Header=BB1_280 Depth=1
	s_or_b32 exec_lo, exec_lo, s7
.LBB1_285:                              ;   in Loop: Header=BB1_280 Depth=1
	s_delay_alu instid0(SALU_CYCLE_1)
	s_or_b32 exec_lo, exec_lo, s6
	s_mov_b32 s4, 0
.LBB1_286:                              ;   in Loop: Header=BB1_280 Depth=1
	s_or_saveexec_b32 s0, s1
	v_mov_b32_e32 v4, v6
	v_dual_mov_b32 v10, s4 :: v_dual_mov_b32 v5, v7
	s_xor_b32 exec_lo, exec_lo, s0
	s_cbranch_execz .LBB1_288
; %bb.287:                              ;   in Loop: Header=BB1_280 Depth=1
	s_waitcnt vmcnt(0)
	flat_load_b64 v[2:3], v[6:7]
	v_add_nc_u32_e32 v10, -8, v32
	s_waitcnt vmcnt(0) lgkmcnt(0)
	v_and_b32_e32 v4, 0xff, v3
	v_and_b32_e32 v5, 0xff00, v3
	;; [unrolled: 1-line block ×4, first 2 shown]
	v_or3_b32 v2, v2, 0, 0
	s_delay_alu instid0(VALU_DEP_4) | instskip(NEXT) | instid1(VALU_DEP_1)
	v_or_b32_e32 v4, v4, v5
	v_or3_b32 v3, v4, v14, v3
	v_add_co_u32 v4, vcc_lo, v6, 8
	v_add_co_ci_u32_e32 v5, vcc_lo, 0, v7, vcc_lo
.LBB1_288:                              ;   in Loop: Header=BB1_280 Depth=1
	s_or_b32 exec_lo, exec_lo, s0
                                        ; implicit-def: $vgpr14_vgpr15
                                        ; implicit-def: $sgpr1
	s_delay_alu instid0(SALU_CYCLE_1)
	s_mov_b32 s0, exec_lo
	v_cmpx_gt_u32_e32 8, v10
	s_xor_b32 s6, exec_lo, s0
	s_cbranch_execz .LBB1_294
; %bb.289:                              ;   in Loop: Header=BB1_280 Depth=1
	v_mov_b32_e32 v14, 0
	v_mov_b32_e32 v15, 0
	s_mov_b32 s7, exec_lo
	v_cmpx_ne_u32_e32 0, v10
	s_cbranch_execz .LBB1_293
; %bb.290:                              ;   in Loop: Header=BB1_280 Depth=1
	v_mov_b32_e32 v14, 0
	v_mov_b32_e32 v15, 0
	s_mov_b64 s[0:1], 0
	s_mov_b32 s13, 0
	s_mov_b64 s[4:5], 0
	.p2align	6
.LBB1_291:                              ;   Parent Loop BB1_280 Depth=1
                                        ; =>  This Inner Loop Header: Depth=2
	s_delay_alu instid0(SALU_CYCLE_1)
	v_add_co_u32 v16, vcc_lo, v4, s4
	v_add_co_ci_u32_e32 v17, vcc_lo, s5, v5, vcc_lo
	s_add_u32 s4, s4, 1
	s_addc_u32 s5, s5, 0
	v_cmp_eq_u32_e32 vcc_lo, s4, v10
	flat_load_u8 v16, v[16:17]
	s_waitcnt vmcnt(0) lgkmcnt(0)
	v_dual_mov_b32 v17, s12 :: v_dual_and_b32 v16, 0xffff, v16
	s_delay_alu instid0(VALU_DEP_1) | instskip(SKIP_3) | instid1(VALU_DEP_1)
	v_lshlrev_b64 v[16:17], s0, v[16:17]
	s_add_u32 s0, s0, 8
	s_addc_u32 s1, s1, 0
	s_or_b32 s13, vcc_lo, s13
	v_or_b32_e32 v15, v17, v15
	s_delay_alu instid0(VALU_DEP_2)
	v_or_b32_e32 v14, v16, v14
	s_and_not1_b32 exec_lo, exec_lo, s13
	s_cbranch_execnz .LBB1_291
; %bb.292:                              ;   in Loop: Header=BB1_280 Depth=1
	s_or_b32 exec_lo, exec_lo, s13
.LBB1_293:                              ;   in Loop: Header=BB1_280 Depth=1
	s_delay_alu instid0(SALU_CYCLE_1)
	s_or_b32 exec_lo, exec_lo, s7
	s_mov_b32 s1, 0
                                        ; implicit-def: $vgpr10
.LBB1_294:                              ;   in Loop: Header=BB1_280 Depth=1
	s_or_saveexec_b32 s0, s6
	v_mov_b32_e32 v18, s1
	s_xor_b32 exec_lo, exec_lo, s0
	s_cbranch_execz .LBB1_296
; %bb.295:                              ;   in Loop: Header=BB1_280 Depth=1
	flat_load_b64 v[14:15], v[4:5]
	v_add_co_u32 v4, vcc_lo, v4, 8
	v_add_nc_u32_e32 v18, -8, v10
	v_add_co_ci_u32_e32 v5, vcc_lo, 0, v5, vcc_lo
	s_waitcnt vmcnt(0) lgkmcnt(0)
	v_and_b32_e32 v16, 0xff, v15
	v_and_b32_e32 v17, 0xff00, v15
	;; [unrolled: 1-line block ×4, first 2 shown]
	v_or3_b32 v14, v14, 0, 0
	s_delay_alu instid0(VALU_DEP_4) | instskip(NEXT) | instid1(VALU_DEP_1)
	v_or_b32_e32 v16, v16, v17
	v_or3_b32 v15, v16, v19, v15
.LBB1_296:                              ;   in Loop: Header=BB1_280 Depth=1
	s_or_b32 exec_lo, exec_lo, s0
                                        ; implicit-def: $sgpr1
	s_delay_alu instid0(SALU_CYCLE_1)
	s_mov_b32 s0, exec_lo
	v_cmpx_gt_u32_e32 8, v18
	s_xor_b32 s6, exec_lo, s0
	s_cbranch_execz .LBB1_302
; %bb.297:                              ;   in Loop: Header=BB1_280 Depth=1
	v_mov_b32_e32 v16, 0
	v_mov_b32_e32 v17, 0
	s_mov_b32 s7, exec_lo
	v_cmpx_ne_u32_e32 0, v18
	s_cbranch_execz .LBB1_301
; %bb.298:                              ;   in Loop: Header=BB1_280 Depth=1
	v_mov_b32_e32 v16, 0
	v_mov_b32_e32 v17, 0
	s_mov_b64 s[0:1], 0
	s_mov_b32 s13, 0
	s_mov_b64 s[4:5], 0
	.p2align	6
.LBB1_299:                              ;   Parent Loop BB1_280 Depth=1
                                        ; =>  This Inner Loop Header: Depth=2
	s_delay_alu instid0(SALU_CYCLE_1)
	v_add_co_u32 v19, vcc_lo, v4, s4
	v_add_co_ci_u32_e32 v20, vcc_lo, s5, v5, vcc_lo
	s_add_u32 s4, s4, 1
	s_addc_u32 s5, s5, 0
	v_cmp_eq_u32_e32 vcc_lo, s4, v18
	flat_load_u8 v10, v[19:20]
	s_waitcnt vmcnt(0) lgkmcnt(0)
	v_dual_mov_b32 v20, s12 :: v_dual_and_b32 v19, 0xffff, v10
	s_delay_alu instid0(VALU_DEP_1) | instskip(SKIP_3) | instid1(VALU_DEP_1)
	v_lshlrev_b64 v[19:20], s0, v[19:20]
	s_add_u32 s0, s0, 8
	s_addc_u32 s1, s1, 0
	s_or_b32 s13, vcc_lo, s13
	v_or_b32_e32 v17, v20, v17
	s_delay_alu instid0(VALU_DEP_2)
	v_or_b32_e32 v16, v19, v16
	s_and_not1_b32 exec_lo, exec_lo, s13
	s_cbranch_execnz .LBB1_299
; %bb.300:                              ;   in Loop: Header=BB1_280 Depth=1
	s_or_b32 exec_lo, exec_lo, s13
.LBB1_301:                              ;   in Loop: Header=BB1_280 Depth=1
	s_delay_alu instid0(SALU_CYCLE_1)
	s_or_b32 exec_lo, exec_lo, s7
	s_mov_b32 s1, 0
                                        ; implicit-def: $vgpr18
.LBB1_302:                              ;   in Loop: Header=BB1_280 Depth=1
	s_or_saveexec_b32 s0, s6
	v_mov_b32_e32 v10, s1
	s_xor_b32 exec_lo, exec_lo, s0
	s_cbranch_execz .LBB1_304
; %bb.303:                              ;   in Loop: Header=BB1_280 Depth=1
	flat_load_b64 v[16:17], v[4:5]
	v_add_co_u32 v4, vcc_lo, v4, 8
	v_add_co_ci_u32_e32 v5, vcc_lo, 0, v5, vcc_lo
	s_waitcnt vmcnt(0) lgkmcnt(0)
	v_and_b32_e32 v10, 0xff, v17
	v_and_b32_e32 v19, 0xff00, v17
	v_and_b32_e32 v20, 0xff0000, v17
	v_and_b32_e32 v17, 0xff000000, v17
	v_or3_b32 v16, v16, 0, 0
	s_delay_alu instid0(VALU_DEP_4) | instskip(SKIP_1) | instid1(VALU_DEP_2)
	v_or_b32_e32 v19, v10, v19
	v_add_nc_u32_e32 v10, -8, v18
	v_or3_b32 v17, v19, v20, v17
.LBB1_304:                              ;   in Loop: Header=BB1_280 Depth=1
	s_or_b32 exec_lo, exec_lo, s0
                                        ; implicit-def: $vgpr18_vgpr19
                                        ; implicit-def: $sgpr1
	s_delay_alu instid0(SALU_CYCLE_1) | instskip(NEXT) | instid1(VALU_DEP_1)
	s_mov_b32 s0, exec_lo
	v_cmpx_gt_u32_e32 8, v10
	s_xor_b32 s6, exec_lo, s0
	s_cbranch_execz .LBB1_310
; %bb.305:                              ;   in Loop: Header=BB1_280 Depth=1
	v_mov_b32_e32 v18, 0
	v_mov_b32_e32 v19, 0
	s_mov_b32 s7, exec_lo
	v_cmpx_ne_u32_e32 0, v10
	s_cbranch_execz .LBB1_309
; %bb.306:                              ;   in Loop: Header=BB1_280 Depth=1
	v_mov_b32_e32 v18, 0
	v_mov_b32_e32 v19, 0
	s_mov_b64 s[0:1], 0
	s_mov_b32 s13, 0
	s_mov_b64 s[4:5], 0
	.p2align	6
.LBB1_307:                              ;   Parent Loop BB1_280 Depth=1
                                        ; =>  This Inner Loop Header: Depth=2
	s_delay_alu instid0(SALU_CYCLE_1)
	v_add_co_u32 v20, vcc_lo, v4, s4
	v_add_co_ci_u32_e32 v21, vcc_lo, s5, v5, vcc_lo
	s_add_u32 s4, s4, 1
	s_addc_u32 s5, s5, 0
	v_cmp_eq_u32_e32 vcc_lo, s4, v10
	flat_load_u8 v20, v[20:21]
	s_waitcnt vmcnt(0) lgkmcnt(0)
	v_dual_mov_b32 v21, s12 :: v_dual_and_b32 v20, 0xffff, v20
	s_delay_alu instid0(VALU_DEP_1) | instskip(SKIP_3) | instid1(VALU_DEP_1)
	v_lshlrev_b64 v[20:21], s0, v[20:21]
	s_add_u32 s0, s0, 8
	s_addc_u32 s1, s1, 0
	s_or_b32 s13, vcc_lo, s13
	v_or_b32_e32 v19, v21, v19
	s_delay_alu instid0(VALU_DEP_2)
	v_or_b32_e32 v18, v20, v18
	s_and_not1_b32 exec_lo, exec_lo, s13
	s_cbranch_execnz .LBB1_307
; %bb.308:                              ;   in Loop: Header=BB1_280 Depth=1
	s_or_b32 exec_lo, exec_lo, s13
.LBB1_309:                              ;   in Loop: Header=BB1_280 Depth=1
	s_delay_alu instid0(SALU_CYCLE_1)
	s_or_b32 exec_lo, exec_lo, s7
	s_mov_b32 s1, 0
                                        ; implicit-def: $vgpr10
.LBB1_310:                              ;   in Loop: Header=BB1_280 Depth=1
	s_or_saveexec_b32 s0, s6
	v_mov_b32_e32 v22, s1
	s_xor_b32 exec_lo, exec_lo, s0
	s_cbranch_execz .LBB1_312
; %bb.311:                              ;   in Loop: Header=BB1_280 Depth=1
	flat_load_b64 v[18:19], v[4:5]
	v_add_co_u32 v4, vcc_lo, v4, 8
	v_add_nc_u32_e32 v22, -8, v10
	v_add_co_ci_u32_e32 v5, vcc_lo, 0, v5, vcc_lo
	s_waitcnt vmcnt(0) lgkmcnt(0)
	v_and_b32_e32 v20, 0xff, v19
	v_and_b32_e32 v21, 0xff00, v19
	;; [unrolled: 1-line block ×4, first 2 shown]
	v_or3_b32 v18, v18, 0, 0
	s_delay_alu instid0(VALU_DEP_4) | instskip(NEXT) | instid1(VALU_DEP_1)
	v_or_b32_e32 v20, v20, v21
	v_or3_b32 v19, v20, v23, v19
.LBB1_312:                              ;   in Loop: Header=BB1_280 Depth=1
	s_or_b32 exec_lo, exec_lo, s0
                                        ; implicit-def: $sgpr1
	s_delay_alu instid0(SALU_CYCLE_1)
	s_mov_b32 s0, exec_lo
	v_cmpx_gt_u32_e32 8, v22
	s_xor_b32 s6, exec_lo, s0
	s_cbranch_execz .LBB1_318
; %bb.313:                              ;   in Loop: Header=BB1_280 Depth=1
	v_mov_b32_e32 v20, 0
	v_mov_b32_e32 v21, 0
	s_mov_b32 s7, exec_lo
	v_cmpx_ne_u32_e32 0, v22
	s_cbranch_execz .LBB1_317
; %bb.314:                              ;   in Loop: Header=BB1_280 Depth=1
	v_mov_b32_e32 v20, 0
	v_mov_b32_e32 v21, 0
	s_mov_b64 s[0:1], 0
	s_mov_b32 s13, 0
	s_mov_b64 s[4:5], 0
	.p2align	6
.LBB1_315:                              ;   Parent Loop BB1_280 Depth=1
                                        ; =>  This Inner Loop Header: Depth=2
	s_delay_alu instid0(SALU_CYCLE_1)
	v_add_co_u32 v23, vcc_lo, v4, s4
	v_add_co_ci_u32_e32 v24, vcc_lo, s5, v5, vcc_lo
	s_add_u32 s4, s4, 1
	s_addc_u32 s5, s5, 0
	v_cmp_eq_u32_e32 vcc_lo, s4, v22
	flat_load_u8 v10, v[23:24]
	s_waitcnt vmcnt(0) lgkmcnt(0)
	v_dual_mov_b32 v24, s12 :: v_dual_and_b32 v23, 0xffff, v10
	s_delay_alu instid0(VALU_DEP_1) | instskip(SKIP_3) | instid1(VALU_DEP_1)
	v_lshlrev_b64 v[23:24], s0, v[23:24]
	s_add_u32 s0, s0, 8
	s_addc_u32 s1, s1, 0
	s_or_b32 s13, vcc_lo, s13
	v_or_b32_e32 v21, v24, v21
	s_delay_alu instid0(VALU_DEP_2)
	v_or_b32_e32 v20, v23, v20
	s_and_not1_b32 exec_lo, exec_lo, s13
	s_cbranch_execnz .LBB1_315
; %bb.316:                              ;   in Loop: Header=BB1_280 Depth=1
	s_or_b32 exec_lo, exec_lo, s13
.LBB1_317:                              ;   in Loop: Header=BB1_280 Depth=1
	s_delay_alu instid0(SALU_CYCLE_1)
	s_or_b32 exec_lo, exec_lo, s7
	s_mov_b32 s1, 0
                                        ; implicit-def: $vgpr22
.LBB1_318:                              ;   in Loop: Header=BB1_280 Depth=1
	s_or_saveexec_b32 s0, s6
	v_mov_b32_e32 v10, s1
	s_xor_b32 exec_lo, exec_lo, s0
	s_cbranch_execz .LBB1_320
; %bb.319:                              ;   in Loop: Header=BB1_280 Depth=1
	flat_load_b64 v[20:21], v[4:5]
	v_add_co_u32 v4, vcc_lo, v4, 8
	v_add_co_ci_u32_e32 v5, vcc_lo, 0, v5, vcc_lo
	s_waitcnt vmcnt(0) lgkmcnt(0)
	v_and_b32_e32 v10, 0xff, v21
	v_and_b32_e32 v23, 0xff00, v21
	;; [unrolled: 1-line block ×4, first 2 shown]
	v_or3_b32 v20, v20, 0, 0
	s_delay_alu instid0(VALU_DEP_4) | instskip(SKIP_1) | instid1(VALU_DEP_2)
	v_or_b32_e32 v23, v10, v23
	v_add_nc_u32_e32 v10, -8, v22
	v_or3_b32 v21, v23, v24, v21
.LBB1_320:                              ;   in Loop: Header=BB1_280 Depth=1
	s_or_b32 exec_lo, exec_lo, s0
                                        ; implicit-def: $vgpr22_vgpr23
                                        ; implicit-def: $sgpr1
	s_delay_alu instid0(SALU_CYCLE_1) | instskip(NEXT) | instid1(VALU_DEP_1)
	s_mov_b32 s0, exec_lo
	v_cmpx_gt_u32_e32 8, v10
	s_xor_b32 s6, exec_lo, s0
	s_cbranch_execz .LBB1_326
; %bb.321:                              ;   in Loop: Header=BB1_280 Depth=1
	v_mov_b32_e32 v22, 0
	v_mov_b32_e32 v23, 0
	s_mov_b32 s7, exec_lo
	v_cmpx_ne_u32_e32 0, v10
	s_cbranch_execz .LBB1_325
; %bb.322:                              ;   in Loop: Header=BB1_280 Depth=1
	v_mov_b32_e32 v22, 0
	v_mov_b32_e32 v23, 0
	s_mov_b64 s[0:1], 0
	s_mov_b32 s13, 0
	s_mov_b64 s[4:5], 0
	.p2align	6
.LBB1_323:                              ;   Parent Loop BB1_280 Depth=1
                                        ; =>  This Inner Loop Header: Depth=2
	s_delay_alu instid0(SALU_CYCLE_1)
	v_add_co_u32 v24, vcc_lo, v4, s4
	v_add_co_ci_u32_e32 v25, vcc_lo, s5, v5, vcc_lo
	s_add_u32 s4, s4, 1
	s_addc_u32 s5, s5, 0
	v_cmp_eq_u32_e32 vcc_lo, s4, v10
	flat_load_u8 v24, v[24:25]
	s_waitcnt vmcnt(0) lgkmcnt(0)
	v_dual_mov_b32 v25, s12 :: v_dual_and_b32 v24, 0xffff, v24
	s_delay_alu instid0(VALU_DEP_1) | instskip(SKIP_3) | instid1(VALU_DEP_1)
	v_lshlrev_b64 v[24:25], s0, v[24:25]
	s_add_u32 s0, s0, 8
	s_addc_u32 s1, s1, 0
	s_or_b32 s13, vcc_lo, s13
	v_or_b32_e32 v23, v25, v23
	s_delay_alu instid0(VALU_DEP_2)
	v_or_b32_e32 v22, v24, v22
	s_and_not1_b32 exec_lo, exec_lo, s13
	s_cbranch_execnz .LBB1_323
; %bb.324:                              ;   in Loop: Header=BB1_280 Depth=1
	s_or_b32 exec_lo, exec_lo, s13
.LBB1_325:                              ;   in Loop: Header=BB1_280 Depth=1
	s_delay_alu instid0(SALU_CYCLE_1)
	s_or_b32 exec_lo, exec_lo, s7
	s_mov_b32 s1, 0
                                        ; implicit-def: $vgpr10
.LBB1_326:                              ;   in Loop: Header=BB1_280 Depth=1
	s_or_saveexec_b32 s0, s6
	v_mov_b32_e32 v26, s1
	s_xor_b32 exec_lo, exec_lo, s0
	s_cbranch_execz .LBB1_328
; %bb.327:                              ;   in Loop: Header=BB1_280 Depth=1
	flat_load_b64 v[22:23], v[4:5]
	v_add_co_u32 v4, vcc_lo, v4, 8
	v_add_nc_u32_e32 v26, -8, v10
	v_add_co_ci_u32_e32 v5, vcc_lo, 0, v5, vcc_lo
	s_waitcnt vmcnt(0) lgkmcnt(0)
	v_and_b32_e32 v24, 0xff, v23
	v_and_b32_e32 v25, 0xff00, v23
	;; [unrolled: 1-line block ×4, first 2 shown]
	v_or3_b32 v22, v22, 0, 0
	s_delay_alu instid0(VALU_DEP_4) | instskip(NEXT) | instid1(VALU_DEP_1)
	v_or_b32_e32 v24, v24, v25
	v_or3_b32 v23, v24, v27, v23
.LBB1_328:                              ;   in Loop: Header=BB1_280 Depth=1
	s_or_b32 exec_lo, exec_lo, s0
	s_delay_alu instid0(SALU_CYCLE_1)
	s_mov_b32 s0, exec_lo
	v_cmpx_gt_u32_e32 8, v26
	s_xor_b32 s4, exec_lo, s0
	s_cbranch_execz .LBB1_334
; %bb.329:                              ;   in Loop: Header=BB1_280 Depth=1
	v_mov_b32_e32 v24, 0
	v_mov_b32_e32 v25, 0
	s_mov_b32 s5, exec_lo
	v_cmpx_ne_u32_e32 0, v26
	s_cbranch_execz .LBB1_333
; %bb.330:                              ;   in Loop: Header=BB1_280 Depth=1
	v_mov_b32_e32 v24, 0
	v_mov_b32_e32 v25, 0
	s_mov_b64 s[0:1], 0
	s_mov_b32 s6, 0
	.p2align	6
.LBB1_331:                              ;   Parent Loop BB1_280 Depth=1
                                        ; =>  This Inner Loop Header: Depth=2
	flat_load_u8 v10, v[4:5]
	v_mov_b32_e32 v28, s12
	v_add_nc_u32_e32 v26, -1, v26
	v_add_co_u32 v4, vcc_lo, v4, 1
	v_add_co_ci_u32_e32 v5, vcc_lo, 0, v5, vcc_lo
	s_delay_alu instid0(VALU_DEP_3) | instskip(SKIP_2) | instid1(VALU_DEP_1)
	v_cmp_eq_u32_e32 vcc_lo, 0, v26
	s_waitcnt vmcnt(0) lgkmcnt(0)
	v_and_b32_e32 v27, 0xffff, v10
	v_lshlrev_b64 v[27:28], s0, v[27:28]
	s_add_u32 s0, s0, 8
	s_addc_u32 s1, s1, 0
	s_or_b32 s6, vcc_lo, s6
	s_delay_alu instid0(VALU_DEP_1) | instskip(NEXT) | instid1(VALU_DEP_2)
	v_or_b32_e32 v25, v28, v25
	v_or_b32_e32 v24, v27, v24
	s_and_not1_b32 exec_lo, exec_lo, s6
	s_cbranch_execnz .LBB1_331
; %bb.332:                              ;   in Loop: Header=BB1_280 Depth=1
	s_or_b32 exec_lo, exec_lo, s6
.LBB1_333:                              ;   in Loop: Header=BB1_280 Depth=1
	s_delay_alu instid0(SALU_CYCLE_1)
	s_or_b32 exec_lo, exec_lo, s5
                                        ; implicit-def: $vgpr4_vgpr5
.LBB1_334:                              ;   in Loop: Header=BB1_280 Depth=1
	s_and_not1_saveexec_b32 s0, s4
	s_cbranch_execz .LBB1_336
; %bb.335:                              ;   in Loop: Header=BB1_280 Depth=1
	flat_load_b64 v[4:5], v[4:5]
	s_waitcnt vmcnt(0) lgkmcnt(0)
	v_and_b32_e32 v10, 0xff, v5
	v_and_b32_e32 v24, 0xff00, v5
	;; [unrolled: 1-line block ×4, first 2 shown]
	s_delay_alu instid0(VALU_DEP_3) | instskip(SKIP_1) | instid1(VALU_DEP_2)
	v_or_b32_e32 v10, v10, v24
	v_or3_b32 v24, v4, 0, 0
	v_or3_b32 v25, v10, v25, v5
.LBB1_336:                              ;   in Loop: Header=BB1_280 Depth=1
	s_or_b32 exec_lo, exec_lo, s0
	v_readfirstlane_b32 s0, v48
	v_mov_b32_e32 v4, 0
	v_mov_b32_e32 v5, 0
	s_delay_alu instid0(VALU_DEP_3) | instskip(NEXT) | instid1(VALU_DEP_1)
	v_cmp_eq_u32_e64 s0, s0, v48
	s_and_saveexec_b32 s1, s0
	s_cbranch_execz .LBB1_342
; %bb.337:                              ;   in Loop: Header=BB1_280 Depth=1
	global_load_b64 v[28:29], v11, s[2:3] offset:24 glc
	s_waitcnt vmcnt(0)
	buffer_gl1_inv
	buffer_gl0_inv
	s_clause 0x1
	global_load_b64 v[4:5], v11, s[2:3] offset:40
	global_load_b64 v[26:27], v11, s[2:3]
	s_mov_b32 s4, exec_lo
	s_waitcnt vmcnt(1)
	v_and_b32_e32 v5, v5, v29
	v_and_b32_e32 v4, v4, v28
	s_delay_alu instid0(VALU_DEP_2) | instskip(NEXT) | instid1(VALU_DEP_2)
	v_mul_lo_u32 v5, v5, 24
	v_mul_hi_u32 v10, v4, 24
	v_mul_lo_u32 v4, v4, 24
	s_delay_alu instid0(VALU_DEP_2) | instskip(SKIP_1) | instid1(VALU_DEP_2)
	v_add_nc_u32_e32 v5, v10, v5
	s_waitcnt vmcnt(0)
	v_add_co_u32 v4, vcc_lo, v26, v4
	s_delay_alu instid0(VALU_DEP_2)
	v_add_co_ci_u32_e32 v5, vcc_lo, v27, v5, vcc_lo
	global_load_b64 v[26:27], v[4:5], off glc
	s_waitcnt vmcnt(0)
	global_atomic_cmpswap_b64 v[4:5], v11, v[26:29], s[2:3] offset:24 glc
	s_waitcnt vmcnt(0)
	buffer_gl1_inv
	buffer_gl0_inv
	v_cmpx_ne_u64_e64 v[4:5], v[28:29]
	s_cbranch_execz .LBB1_341
; %bb.338:                              ;   in Loop: Header=BB1_280 Depth=1
	s_mov_b32 s5, 0
	.p2align	6
.LBB1_339:                              ;   Parent Loop BB1_280 Depth=1
                                        ; =>  This Inner Loop Header: Depth=2
	s_sleep 1
	s_clause 0x1
	global_load_b64 v[26:27], v11, s[2:3] offset:40
	global_load_b64 v[35:36], v11, s[2:3]
	v_dual_mov_b32 v29, v5 :: v_dual_mov_b32 v28, v4
	s_waitcnt vmcnt(1)
	s_delay_alu instid0(VALU_DEP_1) | instskip(SKIP_1) | instid1(VALU_DEP_1)
	v_and_b32_e32 v10, v26, v28
	s_waitcnt vmcnt(0)
	v_mad_u64_u32 v[4:5], null, v10, 24, v[35:36]
	v_and_b32_e32 v10, v27, v29
	s_delay_alu instid0(VALU_DEP_1) | instskip(NEXT) | instid1(VALU_DEP_1)
	v_mad_u64_u32 v[26:27], null, v10, 24, v[5:6]
	v_mov_b32_e32 v5, v26
	global_load_b64 v[26:27], v[4:5], off glc
	s_waitcnt vmcnt(0)
	global_atomic_cmpswap_b64 v[4:5], v11, v[26:29], s[2:3] offset:24 glc
	s_waitcnt vmcnt(0)
	buffer_gl1_inv
	buffer_gl0_inv
	v_cmp_eq_u64_e32 vcc_lo, v[4:5], v[28:29]
	s_or_b32 s5, vcc_lo, s5
	s_delay_alu instid0(SALU_CYCLE_1)
	s_and_not1_b32 exec_lo, exec_lo, s5
	s_cbranch_execnz .LBB1_339
; %bb.340:                              ;   in Loop: Header=BB1_280 Depth=1
	s_or_b32 exec_lo, exec_lo, s5
.LBB1_341:                              ;   in Loop: Header=BB1_280 Depth=1
	s_delay_alu instid0(SALU_CYCLE_1)
	s_or_b32 exec_lo, exec_lo, s4
.LBB1_342:                              ;   in Loop: Header=BB1_280 Depth=1
	s_delay_alu instid0(SALU_CYCLE_1)
	s_or_b32 exec_lo, exec_lo, s1
	s_clause 0x1
	global_load_b64 v[35:36], v11, s[2:3] offset:40
	global_load_b128 v[26:29], v11, s[2:3]
	v_readfirstlane_b32 s4, v4
	v_readfirstlane_b32 s5, v5
	s_mov_b32 s1, exec_lo
	s_waitcnt vmcnt(1)
	v_readfirstlane_b32 s6, v35
	v_readfirstlane_b32 s7, v36
	s_delay_alu instid0(VALU_DEP_1) | instskip(NEXT) | instid1(SALU_CYCLE_1)
	s_and_b64 s[6:7], s[4:5], s[6:7]
	s_mul_i32 s13, s7, 24
	s_mul_hi_u32 s14, s6, 24
	s_mul_i32 s15, s6, 24
	s_add_i32 s14, s14, s13
	s_waitcnt vmcnt(0)
	v_add_co_u32 v4, vcc_lo, v26, s15
	v_add_co_ci_u32_e32 v5, vcc_lo, s14, v27, vcc_lo
	s_and_saveexec_b32 s13, s0
	s_cbranch_execz .LBB1_344
; %bb.343:                              ;   in Loop: Header=BB1_280 Depth=1
	v_mov_b32_e32 v10, s1
	global_store_b128 v[4:5], v[10:13], off offset:8
.LBB1_344:                              ;   in Loop: Header=BB1_280 Depth=1
	s_or_b32 exec_lo, exec_lo, s13
	v_cmp_lt_u64_e32 vcc_lo, 56, v[30:31]
	v_or_b32_e32 v10, 0, v1
	v_or_b32_e32 v35, v0, v34
	v_lshl_add_u32 v36, v32, 2, 28
	s_lshl_b64 s[6:7], s[6:7], 12
	s_delay_alu instid0(SALU_CYCLE_1) | instskip(NEXT) | instid1(VALU_DEP_1)
	v_add_co_u32 v28, s1, v28, s6
	v_add_co_ci_u32_e64 v29, s1, s7, v29, s1
	v_dual_cndmask_b32 v1, v10, v1 :: v_dual_cndmask_b32 v0, v35, v0
	v_and_b32_e32 v10, 0x1e0, v36
	s_delay_alu instid0(VALU_DEP_4) | instskip(NEXT) | instid1(VALU_DEP_4)
	v_readfirstlane_b32 s6, v28
	v_readfirstlane_b32 s7, v29
	s_delay_alu instid0(VALU_DEP_3)
	v_and_or_b32 v0, 0xffffff1f, v0, v10
	s_clause 0x3
	global_store_b128 v39, v[0:3], s[6:7]
	global_store_b128 v39, v[14:17], s[6:7] offset:16
	global_store_b128 v39, v[18:21], s[6:7] offset:32
	;; [unrolled: 1-line block ×3, first 2 shown]
	s_and_saveexec_b32 s1, s0
	s_cbranch_execz .LBB1_352
; %bb.345:                              ;   in Loop: Header=BB1_280 Depth=1
	s_clause 0x1
	global_load_b64 v[18:19], v11, s[2:3] offset:32 glc
	global_load_b64 v[0:1], v11, s[2:3] offset:40
	v_dual_mov_b32 v16, s4 :: v_dual_mov_b32 v17, s5
	s_waitcnt vmcnt(0)
	v_readfirstlane_b32 s6, v0
	v_readfirstlane_b32 s7, v1
	s_delay_alu instid0(VALU_DEP_1) | instskip(NEXT) | instid1(SALU_CYCLE_1)
	s_and_b64 s[6:7], s[6:7], s[4:5]
	s_mul_i32 s7, s7, 24
	s_mul_hi_u32 s13, s6, 24
	s_mul_i32 s6, s6, 24
	s_add_i32 s13, s13, s7
	v_add_co_u32 v14, vcc_lo, v26, s6
	v_add_co_ci_u32_e32 v15, vcc_lo, s13, v27, vcc_lo
	s_mov_b32 s6, exec_lo
	global_store_b64 v[14:15], v[18:19], off
	s_waitcnt_vscnt null, 0x0
	global_atomic_cmpswap_b64 v[2:3], v11, v[16:19], s[2:3] offset:32 glc
	s_waitcnt vmcnt(0)
	v_cmpx_ne_u64_e64 v[2:3], v[18:19]
	s_cbranch_execz .LBB1_348
; %bb.346:                              ;   in Loop: Header=BB1_280 Depth=1
	s_mov_b32 s7, 0
.LBB1_347:                              ;   Parent Loop BB1_280 Depth=1
                                        ; =>  This Inner Loop Header: Depth=2
	v_dual_mov_b32 v0, s4 :: v_dual_mov_b32 v1, s5
	s_sleep 1
	global_store_b64 v[14:15], v[2:3], off
	s_waitcnt_vscnt null, 0x0
	global_atomic_cmpswap_b64 v[0:1], v11, v[0:3], s[2:3] offset:32 glc
	s_waitcnt vmcnt(0)
	v_cmp_eq_u64_e32 vcc_lo, v[0:1], v[2:3]
	v_dual_mov_b32 v3, v1 :: v_dual_mov_b32 v2, v0
	s_or_b32 s7, vcc_lo, s7
	s_delay_alu instid0(SALU_CYCLE_1)
	s_and_not1_b32 exec_lo, exec_lo, s7
	s_cbranch_execnz .LBB1_347
.LBB1_348:                              ;   in Loop: Header=BB1_280 Depth=1
	s_or_b32 exec_lo, exec_lo, s6
	global_load_b64 v[0:1], v11, s[2:3] offset:16
	s_mov_b32 s7, exec_lo
	s_mov_b32 s6, exec_lo
	v_mbcnt_lo_u32_b32 v2, s7, 0
	s_delay_alu instid0(VALU_DEP_1)
	v_cmpx_eq_u32_e32 0, v2
	s_cbranch_execz .LBB1_350
; %bb.349:                              ;   in Loop: Header=BB1_280 Depth=1
	s_bcnt1_i32_b32 s7, s7
	s_delay_alu instid0(SALU_CYCLE_1)
	v_mov_b32_e32 v10, s7
	s_waitcnt vmcnt(0)
	global_atomic_add_u64 v[0:1], v[10:11], off offset:8
.LBB1_350:                              ;   in Loop: Header=BB1_280 Depth=1
	s_or_b32 exec_lo, exec_lo, s6
	s_waitcnt vmcnt(0)
	global_load_b64 v[2:3], v[0:1], off offset:16
	s_waitcnt vmcnt(0)
	v_cmp_eq_u64_e32 vcc_lo, 0, v[2:3]
	s_cbranch_vccnz .LBB1_352
; %bb.351:                              ;   in Loop: Header=BB1_280 Depth=1
	global_load_b32 v10, v[0:1], off offset:24
	s_waitcnt vmcnt(0)
	v_and_b32_e32 v0, 0xffffff, v10
	s_waitcnt_vscnt null, 0x0
	global_store_b64 v[2:3], v[10:11], off
	v_readfirstlane_b32 m0, v0
	s_sendmsg sendmsg(MSG_INTERRUPT)
.LBB1_352:                              ;   in Loop: Header=BB1_280 Depth=1
	s_or_b32 exec_lo, exec_lo, s1
	v_add_co_u32 v0, vcc_lo, v28, v39
	v_add_co_ci_u32_e32 v1, vcc_lo, 0, v29, vcc_lo
	s_branch .LBB1_356
	.p2align	6
.LBB1_353:                              ;   in Loop: Header=BB1_356 Depth=2
	s_or_b32 exec_lo, exec_lo, s1
	s_delay_alu instid0(VALU_DEP_1) | instskip(NEXT) | instid1(VALU_DEP_1)
	v_readfirstlane_b32 s1, v2
	s_cmp_eq_u32 s1, 0
	s_cbranch_scc1 .LBB1_355
; %bb.354:                              ;   in Loop: Header=BB1_356 Depth=2
	s_sleep 1
	s_cbranch_execnz .LBB1_356
	s_branch .LBB1_358
	.p2align	6
.LBB1_355:                              ;   in Loop: Header=BB1_280 Depth=1
	s_branch .LBB1_358
.LBB1_356:                              ;   Parent Loop BB1_280 Depth=1
                                        ; =>  This Inner Loop Header: Depth=2
	v_mov_b32_e32 v2, 1
	s_and_saveexec_b32 s1, s0
	s_cbranch_execz .LBB1_353
; %bb.357:                              ;   in Loop: Header=BB1_356 Depth=2
	global_load_b32 v2, v[4:5], off offset:20 glc
	s_waitcnt vmcnt(0)
	buffer_gl1_inv
	buffer_gl0_inv
	v_and_b32_e32 v2, 1, v2
	s_branch .LBB1_353
.LBB1_358:                              ;   in Loop: Header=BB1_280 Depth=1
	global_load_b128 v[0:3], v[0:1], off
	s_and_saveexec_b32 s1, s0
	s_cbranch_execz .LBB1_279
; %bb.359:                              ;   in Loop: Header=BB1_280 Depth=1
	s_clause 0x2
	global_load_b64 v[4:5], v11, s[2:3] offset:40
	global_load_b64 v[16:17], v11, s[2:3] offset:24 glc
	global_load_b64 v[14:15], v11, s[2:3]
	s_waitcnt vmcnt(2)
	v_add_co_u32 v10, vcc_lo, v4, 1
	v_add_co_ci_u32_e32 v18, vcc_lo, 0, v5, vcc_lo
	s_delay_alu instid0(VALU_DEP_2) | instskip(NEXT) | instid1(VALU_DEP_2)
	v_add_co_u32 v2, vcc_lo, v10, s4
	v_add_co_ci_u32_e32 v3, vcc_lo, s5, v18, vcc_lo
	s_delay_alu instid0(VALU_DEP_1) | instskip(SKIP_1) | instid1(VALU_DEP_1)
	v_cmp_eq_u64_e32 vcc_lo, 0, v[2:3]
	v_cndmask_b32_e32 v2, v2, v10, vcc_lo
	v_dual_cndmask_b32 v3, v3, v18 :: v_dual_and_b32 v4, v2, v4
	s_delay_alu instid0(VALU_DEP_1) | instskip(NEXT) | instid1(VALU_DEP_2)
	v_and_b32_e32 v5, v3, v5
	v_mul_hi_u32 v10, v4, 24
	s_delay_alu instid0(VALU_DEP_2) | instskip(SKIP_1) | instid1(VALU_DEP_2)
	v_mul_lo_u32 v5, v5, 24
	v_mul_lo_u32 v4, v4, 24
	v_add_nc_u32_e32 v5, v10, v5
	s_waitcnt vmcnt(0)
	s_delay_alu instid0(VALU_DEP_2) | instskip(SKIP_1) | instid1(VALU_DEP_3)
	v_add_co_u32 v14, vcc_lo, v14, v4
	v_mov_b32_e32 v4, v16
	v_add_co_ci_u32_e32 v15, vcc_lo, v15, v5, vcc_lo
	v_mov_b32_e32 v5, v17
	global_store_b64 v[14:15], v[16:17], off
	s_waitcnt_vscnt null, 0x0
	global_atomic_cmpswap_b64 v[4:5], v11, v[2:5], s[2:3] offset:24 glc
	s_waitcnt vmcnt(0)
	v_cmp_ne_u64_e32 vcc_lo, v[4:5], v[16:17]
	s_and_b32 exec_lo, exec_lo, vcc_lo
	s_cbranch_execz .LBB1_279
; %bb.360:                              ;   in Loop: Header=BB1_280 Depth=1
	s_mov_b32 s0, 0
.LBB1_361:                              ;   Parent Loop BB1_280 Depth=1
                                        ; =>  This Inner Loop Header: Depth=2
	s_sleep 1
	global_store_b64 v[14:15], v[4:5], off
	s_waitcnt_vscnt null, 0x0
	global_atomic_cmpswap_b64 v[16:17], v11, v[2:5], s[2:3] offset:24 glc
	s_waitcnt vmcnt(0)
	v_cmp_eq_u64_e32 vcc_lo, v[16:17], v[4:5]
	v_dual_mov_b32 v4, v16 :: v_dual_mov_b32 v5, v17
	s_or_b32 s0, vcc_lo, s0
	s_delay_alu instid0(SALU_CYCLE_1)
	s_and_not1_b32 exec_lo, exec_lo, s0
	s_cbranch_execnz .LBB1_361
	s_branch .LBB1_279
.LBB1_362:
	s_or_b32 exec_lo, exec_lo, s11
                                        ; implicit-def: $vgpr39
                                        ; implicit-def: $vgpr48
.LBB1_363:
	s_and_not1_saveexec_b32 s1, s10
	s_cbranch_execz .LBB1_391
; %bb.364:
	v_readfirstlane_b32 s0, v48
	v_mov_b32_e32 v10, 0
	v_mov_b32_e32 v11, 0
	s_delay_alu instid0(VALU_DEP_3) | instskip(NEXT) | instid1(VALU_DEP_1)
	v_cmp_eq_u32_e64 s0, s0, v48
	s_and_saveexec_b32 s4, s0
	s_cbranch_execz .LBB1_370
; %bb.365:
	s_waitcnt vmcnt(0)
	v_mov_b32_e32 v2, 0
	s_mov_b32 s5, exec_lo
	global_load_b64 v[5:6], v2, s[2:3] offset:24 glc
	s_waitcnt vmcnt(0)
	buffer_gl1_inv
	buffer_gl0_inv
	s_clause 0x1
	global_load_b64 v[3:4], v2, s[2:3] offset:40
	global_load_b64 v[10:11], v2, s[2:3]
	s_waitcnt vmcnt(1)
	v_and_b32_e32 v3, v3, v5
	v_and_b32_e32 v4, v4, v6
	s_delay_alu instid0(VALU_DEP_2) | instskip(NEXT) | instid1(VALU_DEP_2)
	v_mul_hi_u32 v7, v3, 24
	v_mul_lo_u32 v4, v4, 24
	v_mul_lo_u32 v3, v3, 24
	s_delay_alu instid0(VALU_DEP_2) | instskip(SKIP_1) | instid1(VALU_DEP_2)
	v_add_nc_u32_e32 v4, v7, v4
	s_waitcnt vmcnt(0)
	v_add_co_u32 v3, vcc_lo, v10, v3
	s_delay_alu instid0(VALU_DEP_2)
	v_add_co_ci_u32_e32 v4, vcc_lo, v11, v4, vcc_lo
	global_load_b64 v[3:4], v[3:4], off glc
	s_waitcnt vmcnt(0)
	global_atomic_cmpswap_b64 v[10:11], v2, v[3:6], s[2:3] offset:24 glc
	s_waitcnt vmcnt(0)
	buffer_gl1_inv
	buffer_gl0_inv
	v_cmpx_ne_u64_e64 v[10:11], v[5:6]
	s_cbranch_execz .LBB1_369
; %bb.366:
	s_mov_b32 s6, 0
	.p2align	6
.LBB1_367:                              ; =>This Inner Loop Header: Depth=1
	s_sleep 1
	s_clause 0x1
	global_load_b64 v[3:4], v2, s[2:3] offset:40
	global_load_b64 v[12:13], v2, s[2:3]
	v_dual_mov_b32 v5, v10 :: v_dual_mov_b32 v6, v11
	s_waitcnt vmcnt(1)
	s_delay_alu instid0(VALU_DEP_1) | instskip(SKIP_1) | instid1(VALU_DEP_1)
	v_and_b32_e32 v3, v3, v5
	s_waitcnt vmcnt(0)
	v_mad_u64_u32 v[10:11], null, v3, 24, v[12:13]
	s_delay_alu instid0(VALU_DEP_1) | instskip(NEXT) | instid1(VALU_DEP_1)
	v_dual_mov_b32 v3, v11 :: v_dual_and_b32 v4, v4, v6
	v_mad_u64_u32 v[11:12], null, v4, 24, v[3:4]
	global_load_b64 v[3:4], v[10:11], off glc
	s_waitcnt vmcnt(0)
	global_atomic_cmpswap_b64 v[10:11], v2, v[3:6], s[2:3] offset:24 glc
	s_waitcnt vmcnt(0)
	buffer_gl1_inv
	buffer_gl0_inv
	v_cmp_eq_u64_e32 vcc_lo, v[10:11], v[5:6]
	s_or_b32 s6, vcc_lo, s6
	s_delay_alu instid0(SALU_CYCLE_1)
	s_and_not1_b32 exec_lo, exec_lo, s6
	s_cbranch_execnz .LBB1_367
; %bb.368:
	s_or_b32 exec_lo, exec_lo, s6
.LBB1_369:
	s_delay_alu instid0(SALU_CYCLE_1)
	s_or_b32 exec_lo, exec_lo, s5
.LBB1_370:
	s_delay_alu instid0(SALU_CYCLE_1)
	s_or_b32 exec_lo, exec_lo, s4
	s_waitcnt vmcnt(0)
	v_mov_b32_e32 v2, 0
	v_readfirstlane_b32 s4, v10
	v_readfirstlane_b32 s5, v11
	s_mov_b32 s10, exec_lo
	s_clause 0x1
	global_load_b64 v[12:13], v2, s[2:3] offset:40
	global_load_b128 v[4:7], v2, s[2:3]
	s_waitcnt vmcnt(1)
	v_readfirstlane_b32 s6, v12
	v_readfirstlane_b32 s7, v13
	s_delay_alu instid0(VALU_DEP_1) | instskip(NEXT) | instid1(SALU_CYCLE_1)
	s_and_b64 s[6:7], s[4:5], s[6:7]
	s_mul_i32 s11, s7, 24
	s_mul_hi_u32 s12, s6, 24
	s_mul_i32 s13, s6, 24
	s_add_i32 s12, s12, s11
	s_waitcnt vmcnt(0)
	v_add_co_u32 v10, vcc_lo, v4, s13
	v_add_co_ci_u32_e32 v11, vcc_lo, s12, v5, vcc_lo
	s_and_saveexec_b32 s11, s0
	s_cbranch_execz .LBB1_372
; %bb.371:
	v_dual_mov_b32 v12, s10 :: v_dual_mov_b32 v13, v2
	v_dual_mov_b32 v14, 2 :: v_dual_mov_b32 v15, 1
	global_store_b128 v[10:11], v[12:15], off offset:8
.LBB1_372:
	s_or_b32 exec_lo, exec_lo, s11
	s_lshl_b64 s[6:7], s[6:7], 12
	s_mov_b32 s12, 0
	v_add_co_u32 v6, vcc_lo, v6, s6
	v_add_co_ci_u32_e32 v7, vcc_lo, s7, v7, vcc_lo
	s_mov_b32 s13, s12
	s_delay_alu instid0(VALU_DEP_2)
	v_readfirstlane_b32 s6, v6
	v_add_co_u32 v6, vcc_lo, v6, v39
	s_mov_b32 s14, s12
	s_mov_b32 s15, s12
	v_and_or_b32 v0, 0xffffff1f, v0, 32
	v_dual_mov_b32 v3, v2 :: v_dual_mov_b32 v12, s12
	v_readfirstlane_b32 s7, v7
	v_add_co_ci_u32_e32 v7, vcc_lo, 0, v7, vcc_lo
	v_dual_mov_b32 v13, s13 :: v_dual_mov_b32 v14, s14
	v_mov_b32_e32 v15, s15
	s_clause 0x3
	global_store_b128 v39, v[0:3], s[6:7]
	global_store_b128 v39, v[12:15], s[6:7] offset:16
	global_store_b128 v39, v[12:15], s[6:7] offset:32
	;; [unrolled: 1-line block ×3, first 2 shown]
	s_and_saveexec_b32 s6, s0
	s_cbranch_execz .LBB1_380
; %bb.373:
	v_dual_mov_b32 v12, 0 :: v_dual_mov_b32 v13, s4
	v_mov_b32_e32 v14, s5
	s_clause 0x1
	global_load_b64 v[15:16], v12, s[2:3] offset:32 glc
	global_load_b64 v[0:1], v12, s[2:3] offset:40
	s_waitcnt vmcnt(0)
	v_readfirstlane_b32 s10, v0
	v_readfirstlane_b32 s11, v1
	s_delay_alu instid0(VALU_DEP_1) | instskip(NEXT) | instid1(SALU_CYCLE_1)
	s_and_b64 s[10:11], s[10:11], s[4:5]
	s_mul_i32 s7, s11, 24
	s_mul_hi_u32 s11, s10, 24
	s_mul_i32 s10, s10, 24
	s_add_i32 s11, s11, s7
	v_add_co_u32 v4, vcc_lo, v4, s10
	v_add_co_ci_u32_e32 v5, vcc_lo, s11, v5, vcc_lo
	s_mov_b32 s7, exec_lo
	global_store_b64 v[4:5], v[15:16], off
	s_waitcnt_vscnt null, 0x0
	global_atomic_cmpswap_b64 v[2:3], v12, v[13:16], s[2:3] offset:32 glc
	s_waitcnt vmcnt(0)
	v_cmpx_ne_u64_e64 v[2:3], v[15:16]
	s_cbranch_execz .LBB1_376
; %bb.374:
	s_mov_b32 s10, 0
.LBB1_375:                              ; =>This Inner Loop Header: Depth=1
	v_dual_mov_b32 v0, s4 :: v_dual_mov_b32 v1, s5
	s_sleep 1
	global_store_b64 v[4:5], v[2:3], off
	s_waitcnt_vscnt null, 0x0
	global_atomic_cmpswap_b64 v[0:1], v12, v[0:3], s[2:3] offset:32 glc
	s_waitcnt vmcnt(0)
	v_cmp_eq_u64_e32 vcc_lo, v[0:1], v[2:3]
	v_dual_mov_b32 v3, v1 :: v_dual_mov_b32 v2, v0
	s_or_b32 s10, vcc_lo, s10
	s_delay_alu instid0(SALU_CYCLE_1)
	s_and_not1_b32 exec_lo, exec_lo, s10
	s_cbranch_execnz .LBB1_375
.LBB1_376:
	s_or_b32 exec_lo, exec_lo, s7
	v_mov_b32_e32 v3, 0
	s_mov_b32 s10, exec_lo
	s_mov_b32 s7, exec_lo
	v_mbcnt_lo_u32_b32 v2, s10, 0
	global_load_b64 v[0:1], v3, s[2:3] offset:16
	v_cmpx_eq_u32_e32 0, v2
	s_cbranch_execz .LBB1_378
; %bb.377:
	s_bcnt1_i32_b32 s10, s10
	s_delay_alu instid0(SALU_CYCLE_1)
	v_mov_b32_e32 v2, s10
	s_waitcnt vmcnt(0)
	global_atomic_add_u64 v[0:1], v[2:3], off offset:8
.LBB1_378:
	s_or_b32 exec_lo, exec_lo, s7
	s_waitcnt vmcnt(0)
	global_load_b64 v[2:3], v[0:1], off offset:16
	s_waitcnt vmcnt(0)
	v_cmp_eq_u64_e32 vcc_lo, 0, v[2:3]
	s_cbranch_vccnz .LBB1_380
; %bb.379:
	global_load_b32 v0, v[0:1], off offset:24
	s_waitcnt vmcnt(0)
	v_dual_mov_b32 v1, 0 :: v_dual_and_b32 v4, 0xffffff, v0
	s_waitcnt_vscnt null, 0x0
	global_store_b64 v[2:3], v[0:1], off
	v_readfirstlane_b32 m0, v4
	s_sendmsg sendmsg(MSG_INTERRUPT)
.LBB1_380:
	s_or_b32 exec_lo, exec_lo, s6
	s_branch .LBB1_384
	.p2align	6
.LBB1_381:                              ;   in Loop: Header=BB1_384 Depth=1
	s_or_b32 exec_lo, exec_lo, s6
	s_delay_alu instid0(VALU_DEP_1) | instskip(NEXT) | instid1(VALU_DEP_1)
	v_readfirstlane_b32 s6, v0
	s_cmp_eq_u32 s6, 0
	s_cbranch_scc1 .LBB1_383
; %bb.382:                              ;   in Loop: Header=BB1_384 Depth=1
	s_sleep 1
	s_cbranch_execnz .LBB1_384
	s_branch .LBB1_386
	.p2align	6
.LBB1_383:
	s_branch .LBB1_386
.LBB1_384:                              ; =>This Inner Loop Header: Depth=1
	v_mov_b32_e32 v0, 1
	s_and_saveexec_b32 s6, s0
	s_cbranch_execz .LBB1_381
; %bb.385:                              ;   in Loop: Header=BB1_384 Depth=1
	global_load_b32 v0, v[10:11], off offset:20 glc
	s_waitcnt vmcnt(0)
	buffer_gl1_inv
	buffer_gl0_inv
	v_and_b32_e32 v0, 1, v0
	s_branch .LBB1_381
.LBB1_386:
	global_load_b64 v[0:1], v[6:7], off
	s_and_saveexec_b32 s6, s0
	s_cbranch_execz .LBB1_390
; %bb.387:
	v_mov_b32_e32 v10, 0
	s_clause 0x2
	global_load_b64 v[4:5], v10, s[2:3] offset:40
	global_load_b64 v[11:12], v10, s[2:3] offset:24 glc
	global_load_b64 v[6:7], v10, s[2:3]
	s_waitcnt vmcnt(2)
	v_add_co_u32 v13, vcc_lo, v4, 1
	v_add_co_ci_u32_e32 v14, vcc_lo, 0, v5, vcc_lo
	s_delay_alu instid0(VALU_DEP_2) | instskip(NEXT) | instid1(VALU_DEP_2)
	v_add_co_u32 v2, vcc_lo, v13, s4
	v_add_co_ci_u32_e32 v3, vcc_lo, s5, v14, vcc_lo
	s_delay_alu instid0(VALU_DEP_1) | instskip(SKIP_1) | instid1(VALU_DEP_1)
	v_cmp_eq_u64_e32 vcc_lo, 0, v[2:3]
	v_dual_cndmask_b32 v3, v3, v14 :: v_dual_cndmask_b32 v2, v2, v13
	v_and_b32_e32 v5, v3, v5
	s_delay_alu instid0(VALU_DEP_2) | instskip(NEXT) | instid1(VALU_DEP_2)
	v_and_b32_e32 v4, v2, v4
	v_mul_lo_u32 v5, v5, 24
	s_delay_alu instid0(VALU_DEP_2) | instskip(SKIP_1) | instid1(VALU_DEP_2)
	v_mul_hi_u32 v13, v4, 24
	v_mul_lo_u32 v4, v4, 24
	v_add_nc_u32_e32 v5, v13, v5
	s_waitcnt vmcnt(0)
	s_delay_alu instid0(VALU_DEP_2) | instskip(SKIP_1) | instid1(VALU_DEP_3)
	v_add_co_u32 v6, vcc_lo, v6, v4
	v_mov_b32_e32 v4, v11
	v_add_co_ci_u32_e32 v7, vcc_lo, v7, v5, vcc_lo
	v_mov_b32_e32 v5, v12
	global_store_b64 v[6:7], v[11:12], off
	s_waitcnt_vscnt null, 0x0
	global_atomic_cmpswap_b64 v[4:5], v10, v[2:5], s[2:3] offset:24 glc
	s_waitcnt vmcnt(0)
	v_cmp_ne_u64_e32 vcc_lo, v[4:5], v[11:12]
	s_and_b32 exec_lo, exec_lo, vcc_lo
	s_cbranch_execz .LBB1_390
; %bb.388:
	s_mov_b32 s0, 0
.LBB1_389:                              ; =>This Inner Loop Header: Depth=1
	s_sleep 1
	global_store_b64 v[6:7], v[4:5], off
	s_waitcnt_vscnt null, 0x0
	global_atomic_cmpswap_b64 v[11:12], v10, v[2:5], s[2:3] offset:24 glc
	s_waitcnt vmcnt(0)
	v_cmp_eq_u64_e32 vcc_lo, v[11:12], v[4:5]
	v_dual_mov_b32 v4, v11 :: v_dual_mov_b32 v5, v12
	s_or_b32 s0, vcc_lo, s0
	s_delay_alu instid0(SALU_CYCLE_1)
	s_and_not1_b32 exec_lo, exec_lo, s0
	s_cbranch_execnz .LBB1_389
.LBB1_390:
	s_or_b32 exec_lo, exec_lo, s6
.LBB1_391:
	s_delay_alu instid0(SALU_CYCLE_1)
	s_or_b32 exec_lo, exec_lo, s1
	s_waitcnt vmcnt(0)
	v_dual_mov_b32 v2, v8 :: v_dual_mov_b32 v3, v9
	s_mov_b32 s0, 0
.LBB1_392:                              ; =>This Inner Loop Header: Depth=1
	flat_load_u8 v6, v[2:3]
	v_add_co_u32 v4, vcc_lo, v2, 1
	v_add_co_ci_u32_e32 v5, vcc_lo, 0, v3, vcc_lo
	s_delay_alu instid0(VALU_DEP_1) | instskip(SKIP_3) | instid1(SALU_CYCLE_1)
	v_dual_mov_b32 v2, v4 :: v_dual_mov_b32 v3, v5
	s_waitcnt vmcnt(0) lgkmcnt(0)
	v_cmp_eq_u16_e32 vcc_lo, 0, v6
	s_or_b32 s0, vcc_lo, s0
	s_and_not1_b32 exec_lo, exec_lo, s0
	s_cbranch_execnz .LBB1_392
; %bb.393:
	s_or_b32 exec_lo, exec_lo, s0
	v_sub_nc_u32_e32 v4, v4, v8
	v_dual_mov_b32 v2, v8 :: v_dual_mov_b32 v3, v9
	v_mov_b32_e32 v6, 1
	s_getpc_b64 s[0:1]
	s_add_u32 s0, s0, __ockl_fprintf_append_string_n@rel32@lo+4
	s_addc_u32 s1, s1, __ockl_fprintf_append_string_n@rel32@hi+12
	v_ashrrev_i32_e32 v5, 31, v4
	s_swappc_b64 s[30:31], s[0:1]
	s_trap 2
	s_sendmsg_rtn_b32 s0, sendmsg(MSG_RTN_GET_DOORBELL)
	s_mov_b32 ttmp2, m0
	s_waitcnt lgkmcnt(0)
	s_and_b32 s0, s0, 0x3ff
	s_delay_alu instid0(SALU_CYCLE_1) | instskip(NEXT) | instid1(SALU_CYCLE_1)
	s_bitset1_b32 s0, 10
	s_mov_b32 m0, s0
	s_sendmsg sendmsg(MSG_INTERRUPT)
	s_mov_b32 m0, ttmp2
.LBB1_394:                              ; =>This Inner Loop Header: Depth=1
	s_sethalt 5
	s_branch .LBB1_394
.Lfunc_end1:
	.size	__assert_fail, .Lfunc_end1-__assert_fail
                                        ; -- End function
	.section	.AMDGPU.csdata,"",@progbits
; Function info:
; codeLenInByte = 16136
; NumSgprs: 36
; NumVgprs: 51
; ScratchSize: 64
; MemoryBound: 0
	.section	.text._ZN4vllm18act_and_mul_kernelIf15HIP_vector_typeIfLj2EETnPFT_RKS3_EXadL_ZNS_11silu_kernelIfEES3_S5_EETnPFT0_RKS9_EXadL_ZNS_18packed_silu_kernelIS2_EES3_S5_EELb1ELb1ELb0ELb1EEEvPS3_PS4_if,"axG",@progbits,_ZN4vllm18act_and_mul_kernelIf15HIP_vector_typeIfLj2EETnPFT_RKS3_EXadL_ZNS_11silu_kernelIfEES3_S5_EETnPFT0_RKS9_EXadL_ZNS_18packed_silu_kernelIS2_EES3_S5_EELb1ELb1ELb0ELb1EEEvPS3_PS4_if,comdat
	.protected	_ZN4vllm18act_and_mul_kernelIf15HIP_vector_typeIfLj2EETnPFT_RKS3_EXadL_ZNS_11silu_kernelIfEES3_S5_EETnPFT0_RKS9_EXadL_ZNS_18packed_silu_kernelIS2_EES3_S5_EELb1ELb1ELb0ELb1EEEvPS3_PS4_if ; -- Begin function _ZN4vllm18act_and_mul_kernelIf15HIP_vector_typeIfLj2EETnPFT_RKS3_EXadL_ZNS_11silu_kernelIfEES3_S5_EETnPFT0_RKS9_EXadL_ZNS_18packed_silu_kernelIS2_EES3_S5_EELb1ELb1ELb0ELb1EEEvPS3_PS4_if
	.globl	_ZN4vllm18act_and_mul_kernelIf15HIP_vector_typeIfLj2EETnPFT_RKS3_EXadL_ZNS_11silu_kernelIfEES3_S5_EETnPFT0_RKS9_EXadL_ZNS_18packed_silu_kernelIS2_EES3_S5_EELb1ELb1ELb0ELb1EEEvPS3_PS4_if
	.p2align	8
	.type	_ZN4vllm18act_and_mul_kernelIf15HIP_vector_typeIfLj2EETnPFT_RKS3_EXadL_ZNS_11silu_kernelIfEES3_S5_EETnPFT0_RKS9_EXadL_ZNS_18packed_silu_kernelIS2_EES3_S5_EELb1ELb1ELb0ELb1EEEvPS3_PS4_if,@function
_ZN4vllm18act_and_mul_kernelIf15HIP_vector_typeIfLj2EETnPFT_RKS3_EXadL_ZNS_11silu_kernelIfEES3_S5_EETnPFT0_RKS9_EXadL_ZNS_18packed_silu_kernelIS2_EES3_S5_EELb1ELb1ELb0ELb1EEEvPS3_PS4_if: ; @_ZN4vllm18act_and_mul_kernelIf15HIP_vector_typeIfLj2EETnPFT_RKS3_EXadL_ZNS_11silu_kernelIfEES3_S5_EETnPFT0_RKS9_EXadL_ZNS_18packed_silu_kernelIS2_EES3_S5_EELb1ELb1ELb0ELb1EEEvPS3_PS4_if
; %bb.0:
	s_load_b32 s2, s[0:1], 0x10
	s_mov_b32 s32, 0
	s_waitcnt lgkmcnt(0)
	s_ashr_i32 s3, s2, 31
	s_delay_alu instid0(SALU_CYCLE_1) | instskip(NEXT) | instid1(SALU_CYCLE_1)
	s_lshr_b32 s3, s3, 29
	s_add_i32 s2, s2, s3
	s_delay_alu instid0(SALU_CYCLE_1) | instskip(NEXT) | instid1(SALU_CYCLE_1)
	s_ashr_i32 s2, s2, 3
	v_cmp_gt_i32_e32 vcc_lo, s2, v0
	s_and_saveexec_b32 s2, vcc_lo
	s_cbranch_execz .LBB2_2
; %bb.1:
	s_add_u32 s8, s0, 24
	s_addc_u32 s9, s1, 0
	s_getpc_b64 s[0:1]
	s_add_u32 s0, s0, .str@rel32@lo+4
	s_addc_u32 s1, s1, .str@rel32@hi+12
	s_getpc_b64 s[2:3]
	s_add_u32 s2, s2, __PRETTY_FUNCTION__._ZN4vllm5ld256ERNS_7u32x8_tEPKS0_@rel32@lo+4
	s_addc_u32 s3, s3, __PRETTY_FUNCTION__._ZN4vllm5ld256ERNS_7u32x8_tEPKS0_@rel32@hi+12
	v_dual_mov_b32 v0, s0 :: v_dual_mov_b32 v1, s1
	v_dual_mov_b32 v2, 0x93 :: v_dual_mov_b32 v3, s2
	v_mov_b32_e32 v4, s3
	s_getpc_b64 s[4:5]
	s_add_u32 s4, s4, __assert_fail@rel32@lo+4
	s_addc_u32 s5, s5, __assert_fail@rel32@hi+12
	s_delay_alu instid0(SALU_CYCLE_1)
	s_swappc_b64 s[30:31], s[4:5]
	; divergent unreachable
.LBB2_2:
	s_endpgm
	.section	.rodata,"a",@progbits
	.p2align	6, 0x0
	.amdhsa_kernel _ZN4vllm18act_and_mul_kernelIf15HIP_vector_typeIfLj2EETnPFT_RKS3_EXadL_ZNS_11silu_kernelIfEES3_S5_EETnPFT0_RKS9_EXadL_ZNS_18packed_silu_kernelIS2_EES3_S5_EELb1ELb1ELb0ELb1EEEvPS3_PS4_if
		.amdhsa_group_segment_fixed_size 0
		.amdhsa_private_segment_fixed_size 64
		.amdhsa_kernarg_size 280
		.amdhsa_user_sgpr_count 15
		.amdhsa_user_sgpr_dispatch_ptr 0
		.amdhsa_user_sgpr_queue_ptr 0
		.amdhsa_user_sgpr_kernarg_segment_ptr 1
		.amdhsa_user_sgpr_dispatch_id 0
		.amdhsa_user_sgpr_private_segment_size 0
		.amdhsa_wavefront_size32 1
		.amdhsa_uses_dynamic_stack 0
		.amdhsa_enable_private_segment 1
		.amdhsa_system_sgpr_workgroup_id_x 1
		.amdhsa_system_sgpr_workgroup_id_y 0
		.amdhsa_system_sgpr_workgroup_id_z 0
		.amdhsa_system_sgpr_workgroup_info 0
		.amdhsa_system_vgpr_workitem_id 0
		.amdhsa_next_free_vgpr 51
		.amdhsa_next_free_sgpr 34
		.amdhsa_reserve_vcc 1
		.amdhsa_float_round_mode_32 0
		.amdhsa_float_round_mode_16_64 0
		.amdhsa_float_denorm_mode_32 3
		.amdhsa_float_denorm_mode_16_64 3
		.amdhsa_dx10_clamp 1
		.amdhsa_ieee_mode 1
		.amdhsa_fp16_overflow 0
		.amdhsa_workgroup_processor_mode 1
		.amdhsa_memory_ordered 1
		.amdhsa_forward_progress 0
		.amdhsa_shared_vgpr_count 0
		.amdhsa_exception_fp_ieee_invalid_op 0
		.amdhsa_exception_fp_denorm_src 0
		.amdhsa_exception_fp_ieee_div_zero 0
		.amdhsa_exception_fp_ieee_overflow 0
		.amdhsa_exception_fp_ieee_underflow 0
		.amdhsa_exception_fp_ieee_inexact 0
		.amdhsa_exception_int_div_zero 0
	.end_amdhsa_kernel
	.section	.text._ZN4vllm18act_and_mul_kernelIf15HIP_vector_typeIfLj2EETnPFT_RKS3_EXadL_ZNS_11silu_kernelIfEES3_S5_EETnPFT0_RKS9_EXadL_ZNS_18packed_silu_kernelIS2_EES3_S5_EELb1ELb1ELb0ELb1EEEvPS3_PS4_if,"axG",@progbits,_ZN4vllm18act_and_mul_kernelIf15HIP_vector_typeIfLj2EETnPFT_RKS3_EXadL_ZNS_11silu_kernelIfEES3_S5_EETnPFT0_RKS9_EXadL_ZNS_18packed_silu_kernelIS2_EES3_S5_EELb1ELb1ELb0ELb1EEEvPS3_PS4_if,comdat
.Lfunc_end2:
	.size	_ZN4vllm18act_and_mul_kernelIf15HIP_vector_typeIfLj2EETnPFT_RKS3_EXadL_ZNS_11silu_kernelIfEES3_S5_EETnPFT0_RKS9_EXadL_ZNS_18packed_silu_kernelIS2_EES3_S5_EELb1ELb1ELb0ELb1EEEvPS3_PS4_if, .Lfunc_end2-_ZN4vllm18act_and_mul_kernelIf15HIP_vector_typeIfLj2EETnPFT_RKS3_EXadL_ZNS_11silu_kernelIfEES3_S5_EETnPFT0_RKS9_EXadL_ZNS_18packed_silu_kernelIS2_EES3_S5_EELb1ELb1ELb0ELb1EEEvPS3_PS4_if
                                        ; -- End function
	.section	.AMDGPU.csdata,"",@progbits
; Kernel info:
; codeLenInByte = 156
; NumSgprs: 36
; NumVgprs: 51
; ScratchSize: 64
; MemoryBound: 0
; FloatMode: 240
; IeeeMode: 1
; LDSByteSize: 0 bytes/workgroup (compile time only)
; SGPRBlocks: 4
; VGPRBlocks: 6
; NumSGPRsForWavesPerEU: 36
; NumVGPRsForWavesPerEU: 51
; Occupancy: 16
; WaveLimiterHint : 1
; COMPUTE_PGM_RSRC2:SCRATCH_EN: 1
; COMPUTE_PGM_RSRC2:USER_SGPR: 15
; COMPUTE_PGM_RSRC2:TRAP_HANDLER: 0
; COMPUTE_PGM_RSRC2:TGID_X_EN: 1
; COMPUTE_PGM_RSRC2:TGID_Y_EN: 0
; COMPUTE_PGM_RSRC2:TGID_Z_EN: 0
; COMPUTE_PGM_RSRC2:TIDIG_COMP_CNT: 0
	.section	.text._ZN4vllm18act_and_mul_kernelIN3c104HalfE7__half2TnPFT_RKS4_EXadL_ZNS_11silu_kernelIS2_EES4_S6_EETnPFT0_RKSA_EXadL_ZNS_18packed_silu_kernelIS3_EES4_S6_EELb1ELb1ELb0ELb1EEEvPS4_PS5_if,"axG",@progbits,_ZN4vllm18act_and_mul_kernelIN3c104HalfE7__half2TnPFT_RKS4_EXadL_ZNS_11silu_kernelIS2_EES4_S6_EETnPFT0_RKSA_EXadL_ZNS_18packed_silu_kernelIS3_EES4_S6_EELb1ELb1ELb0ELb1EEEvPS4_PS5_if,comdat
	.protected	_ZN4vllm18act_and_mul_kernelIN3c104HalfE7__half2TnPFT_RKS4_EXadL_ZNS_11silu_kernelIS2_EES4_S6_EETnPFT0_RKSA_EXadL_ZNS_18packed_silu_kernelIS3_EES4_S6_EELb1ELb1ELb0ELb1EEEvPS4_PS5_if ; -- Begin function _ZN4vllm18act_and_mul_kernelIN3c104HalfE7__half2TnPFT_RKS4_EXadL_ZNS_11silu_kernelIS2_EES4_S6_EETnPFT0_RKSA_EXadL_ZNS_18packed_silu_kernelIS3_EES4_S6_EELb1ELb1ELb0ELb1EEEvPS4_PS5_if
	.globl	_ZN4vllm18act_and_mul_kernelIN3c104HalfE7__half2TnPFT_RKS4_EXadL_ZNS_11silu_kernelIS2_EES4_S6_EETnPFT0_RKSA_EXadL_ZNS_18packed_silu_kernelIS3_EES4_S6_EELb1ELb1ELb0ELb1EEEvPS4_PS5_if
	.p2align	8
	.type	_ZN4vllm18act_and_mul_kernelIN3c104HalfE7__half2TnPFT_RKS4_EXadL_ZNS_11silu_kernelIS2_EES4_S6_EETnPFT0_RKSA_EXadL_ZNS_18packed_silu_kernelIS3_EES4_S6_EELb1ELb1ELb0ELb1EEEvPS4_PS5_if,@function
_ZN4vllm18act_and_mul_kernelIN3c104HalfE7__half2TnPFT_RKS4_EXadL_ZNS_11silu_kernelIS2_EES4_S6_EETnPFT0_RKSA_EXadL_ZNS_18packed_silu_kernelIS3_EES4_S6_EELb1ELb1ELb0ELb1EEEvPS4_PS5_if: ; @_ZN4vllm18act_and_mul_kernelIN3c104HalfE7__half2TnPFT_RKS4_EXadL_ZNS_11silu_kernelIS2_EES4_S6_EETnPFT0_RKSA_EXadL_ZNS_18packed_silu_kernelIS3_EES4_S6_EELb1ELb1ELb0ELb1EEEvPS4_PS5_if
; %bb.0:
	s_load_b32 s2, s[0:1], 0x10
	s_mov_b32 s32, 0
	s_waitcnt lgkmcnt(0)
	s_ashr_i32 s3, s2, 31
	s_delay_alu instid0(SALU_CYCLE_1) | instskip(NEXT) | instid1(SALU_CYCLE_1)
	s_lshr_b32 s3, s3, 28
	s_add_i32 s2, s2, s3
	s_delay_alu instid0(SALU_CYCLE_1) | instskip(NEXT) | instid1(SALU_CYCLE_1)
	s_ashr_i32 s2, s2, 4
	v_cmp_gt_i32_e32 vcc_lo, s2, v0
	s_and_saveexec_b32 s2, vcc_lo
	s_cbranch_execz .LBB3_2
; %bb.1:
	s_add_u32 s8, s0, 24
	s_addc_u32 s9, s1, 0
	s_getpc_b64 s[0:1]
	s_add_u32 s0, s0, .str@rel32@lo+4
	s_addc_u32 s1, s1, .str@rel32@hi+12
	s_getpc_b64 s[2:3]
	s_add_u32 s2, s2, __PRETTY_FUNCTION__._ZN4vllm5ld256ERNS_7u32x8_tEPKS0_@rel32@lo+4
	s_addc_u32 s3, s3, __PRETTY_FUNCTION__._ZN4vllm5ld256ERNS_7u32x8_tEPKS0_@rel32@hi+12
	v_dual_mov_b32 v0, s0 :: v_dual_mov_b32 v1, s1
	v_dual_mov_b32 v2, 0x93 :: v_dual_mov_b32 v3, s2
	v_mov_b32_e32 v4, s3
	s_getpc_b64 s[4:5]
	s_add_u32 s4, s4, __assert_fail@rel32@lo+4
	s_addc_u32 s5, s5, __assert_fail@rel32@hi+12
	s_delay_alu instid0(SALU_CYCLE_1)
	s_swappc_b64 s[30:31], s[4:5]
	; divergent unreachable
.LBB3_2:
	s_endpgm
	.section	.rodata,"a",@progbits
	.p2align	6, 0x0
	.amdhsa_kernel _ZN4vllm18act_and_mul_kernelIN3c104HalfE7__half2TnPFT_RKS4_EXadL_ZNS_11silu_kernelIS2_EES4_S6_EETnPFT0_RKSA_EXadL_ZNS_18packed_silu_kernelIS3_EES4_S6_EELb1ELb1ELb0ELb1EEEvPS4_PS5_if
		.amdhsa_group_segment_fixed_size 0
		.amdhsa_private_segment_fixed_size 64
		.amdhsa_kernarg_size 280
		.amdhsa_user_sgpr_count 15
		.amdhsa_user_sgpr_dispatch_ptr 0
		.amdhsa_user_sgpr_queue_ptr 0
		.amdhsa_user_sgpr_kernarg_segment_ptr 1
		.amdhsa_user_sgpr_dispatch_id 0
		.amdhsa_user_sgpr_private_segment_size 0
		.amdhsa_wavefront_size32 1
		.amdhsa_uses_dynamic_stack 0
		.amdhsa_enable_private_segment 1
		.amdhsa_system_sgpr_workgroup_id_x 1
		.amdhsa_system_sgpr_workgroup_id_y 0
		.amdhsa_system_sgpr_workgroup_id_z 0
		.amdhsa_system_sgpr_workgroup_info 0
		.amdhsa_system_vgpr_workitem_id 0
		.amdhsa_next_free_vgpr 51
		.amdhsa_next_free_sgpr 34
		.amdhsa_reserve_vcc 1
		.amdhsa_float_round_mode_32 0
		.amdhsa_float_round_mode_16_64 0
		.amdhsa_float_denorm_mode_32 3
		.amdhsa_float_denorm_mode_16_64 3
		.amdhsa_dx10_clamp 1
		.amdhsa_ieee_mode 1
		.amdhsa_fp16_overflow 0
		.amdhsa_workgroup_processor_mode 1
		.amdhsa_memory_ordered 1
		.amdhsa_forward_progress 0
		.amdhsa_shared_vgpr_count 0
		.amdhsa_exception_fp_ieee_invalid_op 0
		.amdhsa_exception_fp_denorm_src 0
		.amdhsa_exception_fp_ieee_div_zero 0
		.amdhsa_exception_fp_ieee_overflow 0
		.amdhsa_exception_fp_ieee_underflow 0
		.amdhsa_exception_fp_ieee_inexact 0
		.amdhsa_exception_int_div_zero 0
	.end_amdhsa_kernel
	.section	.text._ZN4vllm18act_and_mul_kernelIN3c104HalfE7__half2TnPFT_RKS4_EXadL_ZNS_11silu_kernelIS2_EES4_S6_EETnPFT0_RKSA_EXadL_ZNS_18packed_silu_kernelIS3_EES4_S6_EELb1ELb1ELb0ELb1EEEvPS4_PS5_if,"axG",@progbits,_ZN4vllm18act_and_mul_kernelIN3c104HalfE7__half2TnPFT_RKS4_EXadL_ZNS_11silu_kernelIS2_EES4_S6_EETnPFT0_RKSA_EXadL_ZNS_18packed_silu_kernelIS3_EES4_S6_EELb1ELb1ELb0ELb1EEEvPS4_PS5_if,comdat
.Lfunc_end3:
	.size	_ZN4vllm18act_and_mul_kernelIN3c104HalfE7__half2TnPFT_RKS4_EXadL_ZNS_11silu_kernelIS2_EES4_S6_EETnPFT0_RKSA_EXadL_ZNS_18packed_silu_kernelIS3_EES4_S6_EELb1ELb1ELb0ELb1EEEvPS4_PS5_if, .Lfunc_end3-_ZN4vllm18act_and_mul_kernelIN3c104HalfE7__half2TnPFT_RKS4_EXadL_ZNS_11silu_kernelIS2_EES4_S6_EETnPFT0_RKSA_EXadL_ZNS_18packed_silu_kernelIS3_EES4_S6_EELb1ELb1ELb0ELb1EEEvPS4_PS5_if
                                        ; -- End function
	.section	.AMDGPU.csdata,"",@progbits
; Kernel info:
; codeLenInByte = 156
; NumSgprs: 36
; NumVgprs: 51
; ScratchSize: 64
; MemoryBound: 0
; FloatMode: 240
; IeeeMode: 1
; LDSByteSize: 0 bytes/workgroup (compile time only)
; SGPRBlocks: 4
; VGPRBlocks: 6
; NumSGPRsForWavesPerEU: 36
; NumVGPRsForWavesPerEU: 51
; Occupancy: 16
; WaveLimiterHint : 1
; COMPUTE_PGM_RSRC2:SCRATCH_EN: 1
; COMPUTE_PGM_RSRC2:USER_SGPR: 15
; COMPUTE_PGM_RSRC2:TRAP_HANDLER: 0
; COMPUTE_PGM_RSRC2:TGID_X_EN: 1
; COMPUTE_PGM_RSRC2:TGID_Y_EN: 0
; COMPUTE_PGM_RSRC2:TGID_Z_EN: 0
; COMPUTE_PGM_RSRC2:TIDIG_COMP_CNT: 0
	.section	.text._ZN4vllm18act_and_mul_kernelIN3c108BFloat16E15__hip_bfloat162TnPFT_RKS4_EXadL_ZNS_11silu_kernelIS2_EES4_S6_EETnPFT0_RKSA_EXadL_ZNS_18packed_silu_kernelIS3_EES4_S6_EELb1ELb1ELb0ELb1EEEvPS4_PS5_if,"axG",@progbits,_ZN4vllm18act_and_mul_kernelIN3c108BFloat16E15__hip_bfloat162TnPFT_RKS4_EXadL_ZNS_11silu_kernelIS2_EES4_S6_EETnPFT0_RKSA_EXadL_ZNS_18packed_silu_kernelIS3_EES4_S6_EELb1ELb1ELb0ELb1EEEvPS4_PS5_if,comdat
	.protected	_ZN4vllm18act_and_mul_kernelIN3c108BFloat16E15__hip_bfloat162TnPFT_RKS4_EXadL_ZNS_11silu_kernelIS2_EES4_S6_EETnPFT0_RKSA_EXadL_ZNS_18packed_silu_kernelIS3_EES4_S6_EELb1ELb1ELb0ELb1EEEvPS4_PS5_if ; -- Begin function _ZN4vllm18act_and_mul_kernelIN3c108BFloat16E15__hip_bfloat162TnPFT_RKS4_EXadL_ZNS_11silu_kernelIS2_EES4_S6_EETnPFT0_RKSA_EXadL_ZNS_18packed_silu_kernelIS3_EES4_S6_EELb1ELb1ELb0ELb1EEEvPS4_PS5_if
	.globl	_ZN4vllm18act_and_mul_kernelIN3c108BFloat16E15__hip_bfloat162TnPFT_RKS4_EXadL_ZNS_11silu_kernelIS2_EES4_S6_EETnPFT0_RKSA_EXadL_ZNS_18packed_silu_kernelIS3_EES4_S6_EELb1ELb1ELb0ELb1EEEvPS4_PS5_if
	.p2align	8
	.type	_ZN4vllm18act_and_mul_kernelIN3c108BFloat16E15__hip_bfloat162TnPFT_RKS4_EXadL_ZNS_11silu_kernelIS2_EES4_S6_EETnPFT0_RKSA_EXadL_ZNS_18packed_silu_kernelIS3_EES4_S6_EELb1ELb1ELb0ELb1EEEvPS4_PS5_if,@function
_ZN4vllm18act_and_mul_kernelIN3c108BFloat16E15__hip_bfloat162TnPFT_RKS4_EXadL_ZNS_11silu_kernelIS2_EES4_S6_EETnPFT0_RKSA_EXadL_ZNS_18packed_silu_kernelIS3_EES4_S6_EELb1ELb1ELb0ELb1EEEvPS4_PS5_if: ; @_ZN4vllm18act_and_mul_kernelIN3c108BFloat16E15__hip_bfloat162TnPFT_RKS4_EXadL_ZNS_11silu_kernelIS2_EES4_S6_EETnPFT0_RKSA_EXadL_ZNS_18packed_silu_kernelIS3_EES4_S6_EELb1ELb1ELb0ELb1EEEvPS4_PS5_if
; %bb.0:
	s_load_b32 s2, s[0:1], 0x10
	s_mov_b32 s32, 0
	s_waitcnt lgkmcnt(0)
	s_ashr_i32 s3, s2, 31
	s_delay_alu instid0(SALU_CYCLE_1) | instskip(NEXT) | instid1(SALU_CYCLE_1)
	s_lshr_b32 s3, s3, 28
	s_add_i32 s2, s2, s3
	s_delay_alu instid0(SALU_CYCLE_1) | instskip(NEXT) | instid1(SALU_CYCLE_1)
	s_ashr_i32 s2, s2, 4
	v_cmp_gt_i32_e32 vcc_lo, s2, v0
	s_and_saveexec_b32 s2, vcc_lo
	s_cbranch_execz .LBB4_2
; %bb.1:
	s_add_u32 s8, s0, 24
	s_addc_u32 s9, s1, 0
	s_getpc_b64 s[0:1]
	s_add_u32 s0, s0, .str@rel32@lo+4
	s_addc_u32 s1, s1, .str@rel32@hi+12
	s_getpc_b64 s[2:3]
	s_add_u32 s2, s2, __PRETTY_FUNCTION__._ZN4vllm5ld256ERNS_7u32x8_tEPKS0_@rel32@lo+4
	s_addc_u32 s3, s3, __PRETTY_FUNCTION__._ZN4vllm5ld256ERNS_7u32x8_tEPKS0_@rel32@hi+12
	v_dual_mov_b32 v0, s0 :: v_dual_mov_b32 v1, s1
	v_dual_mov_b32 v2, 0x93 :: v_dual_mov_b32 v3, s2
	v_mov_b32_e32 v4, s3
	s_getpc_b64 s[4:5]
	s_add_u32 s4, s4, __assert_fail@rel32@lo+4
	s_addc_u32 s5, s5, __assert_fail@rel32@hi+12
	s_delay_alu instid0(SALU_CYCLE_1)
	s_swappc_b64 s[30:31], s[4:5]
	; divergent unreachable
.LBB4_2:
	s_endpgm
	.section	.rodata,"a",@progbits
	.p2align	6, 0x0
	.amdhsa_kernel _ZN4vllm18act_and_mul_kernelIN3c108BFloat16E15__hip_bfloat162TnPFT_RKS4_EXadL_ZNS_11silu_kernelIS2_EES4_S6_EETnPFT0_RKSA_EXadL_ZNS_18packed_silu_kernelIS3_EES4_S6_EELb1ELb1ELb0ELb1EEEvPS4_PS5_if
		.amdhsa_group_segment_fixed_size 0
		.amdhsa_private_segment_fixed_size 64
		.amdhsa_kernarg_size 280
		.amdhsa_user_sgpr_count 15
		.amdhsa_user_sgpr_dispatch_ptr 0
		.amdhsa_user_sgpr_queue_ptr 0
		.amdhsa_user_sgpr_kernarg_segment_ptr 1
		.amdhsa_user_sgpr_dispatch_id 0
		.amdhsa_user_sgpr_private_segment_size 0
		.amdhsa_wavefront_size32 1
		.amdhsa_uses_dynamic_stack 0
		.amdhsa_enable_private_segment 1
		.amdhsa_system_sgpr_workgroup_id_x 1
		.amdhsa_system_sgpr_workgroup_id_y 0
		.amdhsa_system_sgpr_workgroup_id_z 0
		.amdhsa_system_sgpr_workgroup_info 0
		.amdhsa_system_vgpr_workitem_id 0
		.amdhsa_next_free_vgpr 51
		.amdhsa_next_free_sgpr 34
		.amdhsa_reserve_vcc 1
		.amdhsa_float_round_mode_32 0
		.amdhsa_float_round_mode_16_64 0
		.amdhsa_float_denorm_mode_32 3
		.amdhsa_float_denorm_mode_16_64 3
		.amdhsa_dx10_clamp 1
		.amdhsa_ieee_mode 1
		.amdhsa_fp16_overflow 0
		.amdhsa_workgroup_processor_mode 1
		.amdhsa_memory_ordered 1
		.amdhsa_forward_progress 0
		.amdhsa_shared_vgpr_count 0
		.amdhsa_exception_fp_ieee_invalid_op 0
		.amdhsa_exception_fp_denorm_src 0
		.amdhsa_exception_fp_ieee_div_zero 0
		.amdhsa_exception_fp_ieee_overflow 0
		.amdhsa_exception_fp_ieee_underflow 0
		.amdhsa_exception_fp_ieee_inexact 0
		.amdhsa_exception_int_div_zero 0
	.end_amdhsa_kernel
	.section	.text._ZN4vllm18act_and_mul_kernelIN3c108BFloat16E15__hip_bfloat162TnPFT_RKS4_EXadL_ZNS_11silu_kernelIS2_EES4_S6_EETnPFT0_RKSA_EXadL_ZNS_18packed_silu_kernelIS3_EES4_S6_EELb1ELb1ELb0ELb1EEEvPS4_PS5_if,"axG",@progbits,_ZN4vllm18act_and_mul_kernelIN3c108BFloat16E15__hip_bfloat162TnPFT_RKS4_EXadL_ZNS_11silu_kernelIS2_EES4_S6_EETnPFT0_RKSA_EXadL_ZNS_18packed_silu_kernelIS3_EES4_S6_EELb1ELb1ELb0ELb1EEEvPS4_PS5_if,comdat
.Lfunc_end4:
	.size	_ZN4vllm18act_and_mul_kernelIN3c108BFloat16E15__hip_bfloat162TnPFT_RKS4_EXadL_ZNS_11silu_kernelIS2_EES4_S6_EETnPFT0_RKSA_EXadL_ZNS_18packed_silu_kernelIS3_EES4_S6_EELb1ELb1ELb0ELb1EEEvPS4_PS5_if, .Lfunc_end4-_ZN4vllm18act_and_mul_kernelIN3c108BFloat16E15__hip_bfloat162TnPFT_RKS4_EXadL_ZNS_11silu_kernelIS2_EES4_S6_EETnPFT0_RKSA_EXadL_ZNS_18packed_silu_kernelIS3_EES4_S6_EELb1ELb1ELb0ELb1EEEvPS4_PS5_if
                                        ; -- End function
	.section	.AMDGPU.csdata,"",@progbits
; Kernel info:
; codeLenInByte = 156
; NumSgprs: 36
; NumVgprs: 51
; ScratchSize: 64
; MemoryBound: 0
; FloatMode: 240
; IeeeMode: 1
; LDSByteSize: 0 bytes/workgroup (compile time only)
; SGPRBlocks: 4
; VGPRBlocks: 6
; NumSGPRsForWavesPerEU: 36
; NumVGPRsForWavesPerEU: 51
; Occupancy: 16
; WaveLimiterHint : 1
; COMPUTE_PGM_RSRC2:SCRATCH_EN: 1
; COMPUTE_PGM_RSRC2:USER_SGPR: 15
; COMPUTE_PGM_RSRC2:TRAP_HANDLER: 0
; COMPUTE_PGM_RSRC2:TGID_X_EN: 1
; COMPUTE_PGM_RSRC2:TGID_Y_EN: 0
; COMPUTE_PGM_RSRC2:TGID_Z_EN: 0
; COMPUTE_PGM_RSRC2:TIDIG_COMP_CNT: 0
	.section	.text._ZN4vllm18act_and_mul_kernelIf15HIP_vector_typeIfLj2EETnPFT_RKS3_EXadL_ZNS_11silu_kernelIfEES3_S5_EETnPFT0_RKS9_EXadL_ZNS_18packed_silu_kernelIS2_EES3_S5_EELb1ELb1ELb0ELb0EEEvPS3_PS4_if,"axG",@progbits,_ZN4vllm18act_and_mul_kernelIf15HIP_vector_typeIfLj2EETnPFT_RKS3_EXadL_ZNS_11silu_kernelIfEES3_S5_EETnPFT0_RKS9_EXadL_ZNS_18packed_silu_kernelIS2_EES3_S5_EELb1ELb1ELb0ELb0EEEvPS3_PS4_if,comdat
	.protected	_ZN4vllm18act_and_mul_kernelIf15HIP_vector_typeIfLj2EETnPFT_RKS3_EXadL_ZNS_11silu_kernelIfEES3_S5_EETnPFT0_RKS9_EXadL_ZNS_18packed_silu_kernelIS2_EES3_S5_EELb1ELb1ELb0ELb0EEEvPS3_PS4_if ; -- Begin function _ZN4vllm18act_and_mul_kernelIf15HIP_vector_typeIfLj2EETnPFT_RKS3_EXadL_ZNS_11silu_kernelIfEES3_S5_EETnPFT0_RKS9_EXadL_ZNS_18packed_silu_kernelIS2_EES3_S5_EELb1ELb1ELb0ELb0EEEvPS3_PS4_if
	.globl	_ZN4vllm18act_and_mul_kernelIf15HIP_vector_typeIfLj2EETnPFT_RKS3_EXadL_ZNS_11silu_kernelIfEES3_S5_EETnPFT0_RKS9_EXadL_ZNS_18packed_silu_kernelIS2_EES3_S5_EELb1ELb1ELb0ELb0EEEvPS3_PS4_if
	.p2align	8
	.type	_ZN4vllm18act_and_mul_kernelIf15HIP_vector_typeIfLj2EETnPFT_RKS3_EXadL_ZNS_11silu_kernelIfEES3_S5_EETnPFT0_RKS9_EXadL_ZNS_18packed_silu_kernelIS2_EES3_S5_EELb1ELb1ELb0ELb0EEEvPS3_PS4_if,@function
_ZN4vllm18act_and_mul_kernelIf15HIP_vector_typeIfLj2EETnPFT_RKS3_EXadL_ZNS_11silu_kernelIfEES3_S5_EETnPFT0_RKS9_EXadL_ZNS_18packed_silu_kernelIS2_EES3_S5_EELb1ELb1ELb0ELb0EEEvPS3_PS4_if: ; @_ZN4vllm18act_and_mul_kernelIf15HIP_vector_typeIfLj2EETnPFT_RKS3_EXadL_ZNS_11silu_kernelIfEES3_S5_EETnPFT0_RKS9_EXadL_ZNS_18packed_silu_kernelIS2_EES3_S5_EELb1ELb1ELb0ELb0EEEvPS3_PS4_if
; %bb.0:
	s_load_b32 s4, s[0:1], 0x10
	s_waitcnt lgkmcnt(0)
	s_ashr_i32 s5, s4, 31
	s_delay_alu instid0(SALU_CYCLE_1) | instskip(NEXT) | instid1(SALU_CYCLE_1)
	s_lshr_b32 s2, s5, 30
	s_add_i32 s2, s4, s2
	s_delay_alu instid0(SALU_CYCLE_1)
	s_ashr_i32 s6, s2, 2
	s_mov_b32 s2, exec_lo
	v_cmpx_gt_i32_e64 s6, v0
	s_cbranch_execz .LBB5_3
; %bb.1:
	s_clause 0x1
	s_load_b32 s7, s[0:1], 0x24
	s_load_b128 s[16:19], s[0:1], 0x0
	s_mul_i32 s0, s15, s4
	s_mov_b32 s3, 0
	s_lshl_b32 s2, s0, 1
	v_lshlrev_b32_e32 v5, 4, v0
	s_lshl_b64 s[8:9], s[2:3], 2
	s_mov_b32 s1, s3
	s_waitcnt lgkmcnt(0)
	s_and_b32 s7, s7, 0xffff
	s_add_u32 s2, s18, s8
	s_addc_u32 s9, s19, s9
	v_add_co_u32 v1, s2, s2, v5
	s_lshl_b64 s[0:1], s[0:1], 2
	s_lshl_b32 s8, s7, 4
	s_lshl_b64 s[4:5], s[4:5], 2
	v_add_co_ci_u32_e64 v2, null, s9, 0, s2
	s_add_u32 s0, s16, s0
	s_addc_u32 s1, s17, s1
	v_add_co_u32 v3, vcc_lo, v1, s4
	v_add_co_u32 v5, s0, s0, v5
	v_add_co_ci_u32_e32 v4, vcc_lo, s5, v2, vcc_lo
	v_add_co_ci_u32_e64 v6, null, s1, 0, s0
	s_mov_b64 s[4:5], 0
.LBB5_2:                                ; =>This Inner Loop Header: Depth=1
	s_delay_alu instid0(SALU_CYCLE_1)
	v_add_co_u32 v7, vcc_lo, v1, s4
	v_add_co_ci_u32_e32 v8, vcc_lo, s5, v2, vcc_lo
	v_add_co_u32 v11, vcc_lo, v3, s4
	v_add_co_ci_u32_e32 v12, vcc_lo, s5, v4, vcc_lo
	global_load_b128 v[7:10], v[7:8], off
	v_add_co_u32 v15, vcc_lo, v5, s4
	global_load_b128 v[11:14], v[11:12], off
	v_add_co_ci_u32_e32 v16, vcc_lo, s5, v6, vcc_lo
	s_add_u32 s4, s4, s8
	s_addc_u32 s5, s5, 0
	s_waitcnt vmcnt(1)
	v_dual_mul_f32 v17, 0xbfb8aa3b, v7 :: v_dual_add_nc_u32 v0, s7, v0
	v_dual_mul_f32 v18, 0xbfb8aa3b, v8 :: v_dual_mul_f32 v19, 0xbfb8aa3b, v9
	v_mul_f32_e32 v20, 0xbfb8aa3b, v10
	v_cmp_nlt_f32_e32 vcc_lo, 0x42ce8ed0, v8
	s_delay_alu instid0(VALU_DEP_4)
	v_fma_f32 v21, 0xbfb8aa3b, v7, -v17
	v_rndne_f32_e32 v22, v17
	v_fma_f32 v23, 0xbfb8aa3b, v8, -v18
	v_rndne_f32_e32 v24, v18
	;; [unrolled: 2-line block ×3, first 2 shown]
	v_fma_f32 v25, 0xbfb8aa3b, v9, -v19
	s_delay_alu instid0(VALU_DEP_4) | instskip(NEXT) | instid1(VALU_DEP_3)
	v_dual_fmac_f32 v21, 0xb2a5705f, v7 :: v_dual_sub_f32 v18, v18, v24
	v_dual_sub_f32 v17, v17, v22 :: v_dual_sub_f32 v20, v20, v28
	v_fmac_f32_e32 v27, 0xb2a5705f, v10
	v_fmac_f32_e32 v23, 0xb2a5705f, v8
	v_cvt_i32_f32_e32 v24, v24
	v_cvt_i32_f32_e32 v28, v28
	v_cmp_nlt_f32_e64 s1, 0x42ce8ed0, v10
	v_dual_add_f32 v20, v20, v27 :: v_dual_fmac_f32 v25, 0xb2a5705f, v9
	v_add_f32_e32 v18, v18, v23
	v_rndne_f32_e32 v26, v19
	v_cvt_i32_f32_e32 v22, v22
	s_delay_alu instid0(VALU_DEP_4)
	v_exp_f32_e32 v20, v20
	v_cmp_nlt_f32_e64 s2, 0x42ce8ed0, v7
	v_exp_f32_e32 v18, v18
	v_cmp_nlt_f32_e64 s0, 0x42ce8ed0, v9
	s_waitcnt_depctr 0xfff
	v_ldexp_f32 v20, v20, v28
	v_ldexp_f32 v18, v18, v24
	v_add_f32_e32 v17, v17, v21
	s_delay_alu instid0(VALU_DEP_3) | instskip(SKIP_1) | instid1(VALU_DEP_4)
	v_cndmask_b32_e64 v20, 0, v20, s1
	v_cmp_ngt_f32_e64 s1, 0xc2b17218, v10
	v_cndmask_b32_e32 v18, 0, v18, vcc_lo
	s_delay_alu instid0(VALU_DEP_4) | instskip(SKIP_1) | instid1(VALU_DEP_3)
	v_exp_f32_e32 v17, v17
	v_cmp_ngt_f32_e32 vcc_lo, 0xc2b17218, v8
	v_cndmask_b32_e64 v20, 0x7f800000, v20, s1
	v_sub_f32_e32 v19, v19, v26
	v_cvt_i32_f32_e32 v26, v26
	v_cndmask_b32_e32 v18, 0x7f800000, v18, vcc_lo
	s_delay_alu instid0(VALU_DEP_3) | instskip(NEXT) | instid1(TRANS32_DEP_1)
	v_dual_add_f32 v20, 1.0, v20 :: v_dual_add_f32 v19, v19, v25
	v_ldexp_f32 v17, v17, v22
	s_delay_alu instid0(VALU_DEP_3) | instskip(NEXT) | instid1(VALU_DEP_3)
	v_add_f32_e32 v18, 1.0, v18
	v_div_scale_f32 v27, null, v20, v20, v10
	s_delay_alu instid0(VALU_DEP_3) | instskip(SKIP_4) | instid1(VALU_DEP_2)
	v_cndmask_b32_e64 v17, 0, v17, s2
	v_cmp_ngt_f32_e64 s2, 0xc2b17218, v7
	v_exp_f32_e32 v19, v19
	v_div_scale_f32 v23, null, v18, v18, v8
	v_rcp_f32_e32 v32, v27
	v_cndmask_b32_e64 v17, 0x7f800000, v17, s2
	v_div_scale_f32 v28, s2, v10, v20, v10
	s_delay_alu instid0(VALU_DEP_3) | instskip(NEXT) | instid1(VALU_DEP_2)
	v_rcp_f32_e32 v30, v23
	v_add_f32_e32 v17, 1.0, v17
	s_delay_alu instid0(TRANS32_DEP_3)
	v_ldexp_f32 v19, v19, v26
	s_waitcnt_depctr 0xfff
	v_fma_f32 v36, -v27, v32, 1.0
	v_div_scale_f32 v21, null, v17, v17, v7
	v_cndmask_b32_e64 v19, 0, v19, s0
	v_cmp_ngt_f32_e64 s0, 0xc2b17218, v9
	v_fma_f32 v34, -v23, v30, 1.0
	s_delay_alu instid0(VALU_DEP_4)
	v_rcp_f32_e32 v29, v21
	v_fmac_f32_e32 v32, v36, v32
	v_div_scale_f32 v22, vcc_lo, v7, v17, v7
	v_cndmask_b32_e64 v19, 0x7f800000, v19, s0
	v_fmac_f32_e32 v30, v34, v30
	v_div_scale_f32 v24, s0, v8, v18, v8
	s_delay_alu instid0(VALU_DEP_3) | instskip(NEXT) | instid1(TRANS32_DEP_1)
	v_dual_mul_f32 v36, v28, v32 :: v_dual_add_f32 v19, 1.0, v19
	v_fma_f32 v33, -v21, v29, 1.0
	s_delay_alu instid0(VALU_DEP_3) | instskip(NEXT) | instid1(VALU_DEP_3)
	v_mul_f32_e32 v34, v24, v30
	v_fma_f32 v40, -v27, v36, v28
	s_delay_alu instid0(VALU_DEP_4) | instskip(NEXT) | instid1(VALU_DEP_4)
	v_div_scale_f32 v25, null, v19, v19, v9
	v_fmac_f32_e32 v29, v33, v29
	s_delay_alu instid0(VALU_DEP_4) | instskip(SKIP_1) | instid1(VALU_DEP_4)
	v_fma_f32 v38, -v23, v34, v24
	v_div_scale_f32 v26, s1, v9, v19, v9
	v_rcp_f32_e32 v31, v25
	s_delay_alu instid0(VALU_DEP_3) | instskip(NEXT) | instid1(VALU_DEP_3)
	v_dual_mul_f32 v33, v22, v29 :: v_dual_fmac_f32 v36, v40, v32
	v_fmac_f32_e32 v34, v38, v30
	s_delay_alu instid0(VALU_DEP_2) | instskip(SKIP_3) | instid1(VALU_DEP_2)
	v_fma_f32 v37, -v21, v33, v22
	s_waitcnt_depctr 0xfff
	v_fma_f32 v35, -v25, v31, 1.0
	v_fmac_f32_e32 v33, v37, v29
	v_fmac_f32_e32 v31, v35, v31
	s_delay_alu instid0(VALU_DEP_2) | instskip(SKIP_2) | instid1(VALU_DEP_4)
	v_fma_f32 v21, -v21, v33, v22
	v_fma_f32 v22, -v23, v34, v24
	;; [unrolled: 1-line block ×3, first 2 shown]
	v_mul_f32_e32 v35, v26, v31
	s_delay_alu instid0(VALU_DEP_4) | instskip(SKIP_2) | instid1(VALU_DEP_3)
	v_div_fmas_f32 v21, v21, v29, v33
	s_mov_b32 vcc_lo, s0
	v_div_fmas_f32 v22, v22, v30, v34
	v_fma_f32 v39, -v25, v35, v26
	s_mov_b32 vcc_lo, s1
	v_div_fixup_f32 v7, v21, v17, v7
	s_delay_alu instid0(VALU_DEP_3) | instskip(SKIP_1) | instid1(VALU_DEP_1)
	v_div_fixup_f32 v8, v22, v18, v8
	s_waitcnt vmcnt(0)
	v_dual_fmac_f32 v35, v39, v31 :: v_dual_mul_f32 v8, v8, v12
	s_delay_alu instid0(VALU_DEP_1) | instskip(NEXT) | instid1(VALU_DEP_1)
	v_fma_f32 v23, -v25, v35, v26
	v_div_fmas_f32 v23, v23, v31, v35
	s_mov_b32 vcc_lo, s2
	v_div_fmas_f32 v24, v24, v32, v36
	v_cmp_le_i32_e32 vcc_lo, s6, v0
	s_delay_alu instid0(VALU_DEP_3) | instskip(NEXT) | instid1(VALU_DEP_3)
	v_div_fixup_f32 v9, v23, v19, v9
	v_div_fixup_f32 v10, v24, v20, v10
	v_mul_f32_e32 v7, v7, v11
	s_or_b32 s3, vcc_lo, s3
	s_delay_alu instid0(VALU_DEP_2)
	v_dual_mul_f32 v9, v9, v13 :: v_dual_mul_f32 v10, v10, v14
	global_store_b128 v[15:16], v[7:10], off
	s_and_not1_b32 exec_lo, exec_lo, s3
	s_cbranch_execnz .LBB5_2
.LBB5_3:
	s_nop 0
	s_sendmsg sendmsg(MSG_DEALLOC_VGPRS)
	s_endpgm
	.section	.rodata,"a",@progbits
	.p2align	6, 0x0
	.amdhsa_kernel _ZN4vllm18act_and_mul_kernelIf15HIP_vector_typeIfLj2EETnPFT_RKS3_EXadL_ZNS_11silu_kernelIfEES3_S5_EETnPFT0_RKS9_EXadL_ZNS_18packed_silu_kernelIS2_EES3_S5_EELb1ELb1ELb0ELb0EEEvPS3_PS4_if
		.amdhsa_group_segment_fixed_size 0
		.amdhsa_private_segment_fixed_size 0
		.amdhsa_kernarg_size 280
		.amdhsa_user_sgpr_count 15
		.amdhsa_user_sgpr_dispatch_ptr 0
		.amdhsa_user_sgpr_queue_ptr 0
		.amdhsa_user_sgpr_kernarg_segment_ptr 1
		.amdhsa_user_sgpr_dispatch_id 0
		.amdhsa_user_sgpr_private_segment_size 0
		.amdhsa_wavefront_size32 1
		.amdhsa_uses_dynamic_stack 0
		.amdhsa_enable_private_segment 0
		.amdhsa_system_sgpr_workgroup_id_x 1
		.amdhsa_system_sgpr_workgroup_id_y 0
		.amdhsa_system_sgpr_workgroup_id_z 0
		.amdhsa_system_sgpr_workgroup_info 0
		.amdhsa_system_vgpr_workitem_id 0
		.amdhsa_next_free_vgpr 41
		.amdhsa_next_free_sgpr 20
		.amdhsa_reserve_vcc 1
		.amdhsa_float_round_mode_32 0
		.amdhsa_float_round_mode_16_64 0
		.amdhsa_float_denorm_mode_32 3
		.amdhsa_float_denorm_mode_16_64 3
		.amdhsa_dx10_clamp 1
		.amdhsa_ieee_mode 1
		.amdhsa_fp16_overflow 0
		.amdhsa_workgroup_processor_mode 1
		.amdhsa_memory_ordered 1
		.amdhsa_forward_progress 0
		.amdhsa_shared_vgpr_count 0
		.amdhsa_exception_fp_ieee_invalid_op 0
		.amdhsa_exception_fp_denorm_src 0
		.amdhsa_exception_fp_ieee_div_zero 0
		.amdhsa_exception_fp_ieee_overflow 0
		.amdhsa_exception_fp_ieee_underflow 0
		.amdhsa_exception_fp_ieee_inexact 0
		.amdhsa_exception_int_div_zero 0
	.end_amdhsa_kernel
	.section	.text._ZN4vllm18act_and_mul_kernelIf15HIP_vector_typeIfLj2EETnPFT_RKS3_EXadL_ZNS_11silu_kernelIfEES3_S5_EETnPFT0_RKS9_EXadL_ZNS_18packed_silu_kernelIS2_EES3_S5_EELb1ELb1ELb0ELb0EEEvPS3_PS4_if,"axG",@progbits,_ZN4vllm18act_and_mul_kernelIf15HIP_vector_typeIfLj2EETnPFT_RKS3_EXadL_ZNS_11silu_kernelIfEES3_S5_EETnPFT0_RKS9_EXadL_ZNS_18packed_silu_kernelIS2_EES3_S5_EELb1ELb1ELb0ELb0EEEvPS3_PS4_if,comdat
.Lfunc_end5:
	.size	_ZN4vllm18act_and_mul_kernelIf15HIP_vector_typeIfLj2EETnPFT_RKS3_EXadL_ZNS_11silu_kernelIfEES3_S5_EETnPFT0_RKS9_EXadL_ZNS_18packed_silu_kernelIS2_EES3_S5_EELb1ELb1ELb0ELb0EEEvPS3_PS4_if, .Lfunc_end5-_ZN4vllm18act_and_mul_kernelIf15HIP_vector_typeIfLj2EETnPFT_RKS3_EXadL_ZNS_11silu_kernelIfEES3_S5_EETnPFT0_RKS9_EXadL_ZNS_18packed_silu_kernelIS2_EES3_S5_EELb1ELb1ELb0ELb0EEEvPS3_PS4_if
                                        ; -- End function
	.section	.AMDGPU.csdata,"",@progbits
; Kernel info:
; codeLenInByte = 1112
; NumSgprs: 22
; NumVgprs: 41
; ScratchSize: 0
; MemoryBound: 0
; FloatMode: 240
; IeeeMode: 1
; LDSByteSize: 0 bytes/workgroup (compile time only)
; SGPRBlocks: 2
; VGPRBlocks: 5
; NumSGPRsForWavesPerEU: 22
; NumVGPRsForWavesPerEU: 41
; Occupancy: 16
; WaveLimiterHint : 0
; COMPUTE_PGM_RSRC2:SCRATCH_EN: 0
; COMPUTE_PGM_RSRC2:USER_SGPR: 15
; COMPUTE_PGM_RSRC2:TRAP_HANDLER: 0
; COMPUTE_PGM_RSRC2:TGID_X_EN: 1
; COMPUTE_PGM_RSRC2:TGID_Y_EN: 0
; COMPUTE_PGM_RSRC2:TGID_Z_EN: 0
; COMPUTE_PGM_RSRC2:TIDIG_COMP_CNT: 0
	.section	.text._ZN4vllm18act_and_mul_kernelIN3c104HalfE7__half2TnPFT_RKS4_EXadL_ZNS_11silu_kernelIS2_EES4_S6_EETnPFT0_RKSA_EXadL_ZNS_18packed_silu_kernelIS3_EES4_S6_EELb1ELb1ELb0ELb0EEEvPS4_PS5_if,"axG",@progbits,_ZN4vllm18act_and_mul_kernelIN3c104HalfE7__half2TnPFT_RKS4_EXadL_ZNS_11silu_kernelIS2_EES4_S6_EETnPFT0_RKSA_EXadL_ZNS_18packed_silu_kernelIS3_EES4_S6_EELb1ELb1ELb0ELb0EEEvPS4_PS5_if,comdat
	.protected	_ZN4vllm18act_and_mul_kernelIN3c104HalfE7__half2TnPFT_RKS4_EXadL_ZNS_11silu_kernelIS2_EES4_S6_EETnPFT0_RKSA_EXadL_ZNS_18packed_silu_kernelIS3_EES4_S6_EELb1ELb1ELb0ELb0EEEvPS4_PS5_if ; -- Begin function _ZN4vllm18act_and_mul_kernelIN3c104HalfE7__half2TnPFT_RKS4_EXadL_ZNS_11silu_kernelIS2_EES4_S6_EETnPFT0_RKSA_EXadL_ZNS_18packed_silu_kernelIS3_EES4_S6_EELb1ELb1ELb0ELb0EEEvPS4_PS5_if
	.globl	_ZN4vllm18act_and_mul_kernelIN3c104HalfE7__half2TnPFT_RKS4_EXadL_ZNS_11silu_kernelIS2_EES4_S6_EETnPFT0_RKSA_EXadL_ZNS_18packed_silu_kernelIS3_EES4_S6_EELb1ELb1ELb0ELb0EEEvPS4_PS5_if
	.p2align	8
	.type	_ZN4vllm18act_and_mul_kernelIN3c104HalfE7__half2TnPFT_RKS4_EXadL_ZNS_11silu_kernelIS2_EES4_S6_EETnPFT0_RKSA_EXadL_ZNS_18packed_silu_kernelIS3_EES4_S6_EELb1ELb1ELb0ELb0EEEvPS4_PS5_if,@function
_ZN4vllm18act_and_mul_kernelIN3c104HalfE7__half2TnPFT_RKS4_EXadL_ZNS_11silu_kernelIS2_EES4_S6_EETnPFT0_RKSA_EXadL_ZNS_18packed_silu_kernelIS3_EES4_S6_EELb1ELb1ELb0ELb0EEEvPS4_PS5_if: ; @_ZN4vllm18act_and_mul_kernelIN3c104HalfE7__half2TnPFT_RKS4_EXadL_ZNS_11silu_kernelIS2_EES4_S6_EETnPFT0_RKSA_EXadL_ZNS_18packed_silu_kernelIS3_EES4_S6_EELb1ELb1ELb0ELb0EEEvPS4_PS5_if
; %bb.0:
	s_load_b32 s2, s[0:1], 0x10
	s_waitcnt lgkmcnt(0)
	s_ashr_i32 s3, s2, 31
	s_delay_alu instid0(SALU_CYCLE_1) | instskip(NEXT) | instid1(SALU_CYCLE_1)
	s_lshr_b32 s4, s3, 29
	s_add_i32 s4, s2, s4
	s_delay_alu instid0(SALU_CYCLE_1)
	s_ashr_i32 s10, s4, 3
	s_mov_b32 s4, exec_lo
	v_cmpx_gt_i32_e64 s10, v0
	s_cbranch_execz .LBB6_3
; %bb.1:
	s_clause 0x1
	s_load_b32 s8, s[0:1], 0x24
	s_load_b128 s[16:19], s[0:1], 0x0
	s_mul_i32 s0, s15, s2
	s_mov_b32 s7, 0
	s_lshl_b32 s6, s0, 1
	v_lshlrev_b32_e32 v1, 4, v0
	s_lshl_b64 s[4:5], s[6:7], 1
	s_mov_b32 s1, s7
	s_mov_b32 s13, 0xbfb8aa3b
	s_mov_b32 s14, 0xb2a5705f
	s_waitcnt lgkmcnt(0)
	s_and_b32 s11, s8, 0xffff
	s_add_u32 s4, s18, s4
	s_addc_u32 s5, s19, s5
	v_add_co_u32 v5, s4, s4, v1
	s_lshl_b64 s[0:1], s[0:1], 1
	s_lshl_b32 s12, s11, 4
	s_lshl_b64 s[2:3], s[2:3], 1
	v_add_co_ci_u32_e64 v6, null, s5, 0, s4
	s_add_u32 s0, s16, s0
	s_addc_u32 s1, s17, s1
	v_add_co_u32 v7, vcc_lo, v5, s2
	v_add_co_u32 v9, s0, s0, v1
	v_add_co_ci_u32_e32 v8, vcc_lo, s3, v6, vcc_lo
	v_add_co_ci_u32_e64 v10, null, s1, 0, s0
	s_mov_b64 s[8:9], 0
.LBB6_2:                                ; =>This Inner Loop Header: Depth=1
	s_delay_alu instid0(SALU_CYCLE_1)
	v_add_co_u32 v1, vcc_lo, v5, s8
	v_add_co_ci_u32_e32 v2, vcc_lo, s9, v6, vcc_lo
	v_add_nc_u32_e32 v0, s11, v0
	global_load_b128 v[11:14], v[1:2], off
	v_add_co_u32 v1, vcc_lo, v7, s8
	v_add_co_ci_u32_e32 v2, vcc_lo, s9, v8, vcc_lo
	v_add_co_u32 v15, vcc_lo, v9, s8
	v_add_co_ci_u32_e32 v16, vcc_lo, s9, v10, vcc_lo
	global_load_b128 v[1:4], v[1:2], off
	s_add_u32 s8, s8, s12
	s_addc_u32 s9, s9, 0
	s_waitcnt vmcnt(1)
	v_cvt_f32_f16_e32 v18, v11
	v_cvt_f32_f16_e32 v20, v12
	v_lshrrev_b32_e32 v17, 16, v11
	v_cvt_f32_f16_e32 v22, v13
	v_cvt_f32_f16_e32 v24, v14
	s_delay_alu instid0(VALU_DEP_4) | instskip(SKIP_3) | instid1(VALU_DEP_4)
	v_dual_mul_f32 v25, 0xbfb8aa3b, v18 :: v_dual_mul_f32 v26, 0xbfb8aa3b, v20
	v_lshrrev_b32_e32 v19, 16, v12
	v_lshrrev_b32_e32 v21, 16, v13
	;; [unrolled: 1-line block ×3, first 2 shown]
	v_fma_mix_f32 v30, v11, s13, -v25 op_sel_hi:[1,0,0]
	v_rndne_f32_e32 v31, v25
	v_cvt_f32_f16_e32 v17, v17
	v_dual_mul_f32 v27, 0xbfb8aa3b, v22 :: v_dual_mul_f32 v28, 0xbfb8aa3b, v24
	v_fma_mix_f32 v33, v12, s13, -v26 op_sel_hi:[1,0,0]
	v_rndne_f32_e32 v34, v26
	v_fma_mix_f32 v30, v11, s14, v30 op_sel_hi:[1,0,0]
	v_sub_f32_e32 v25, v25, v31
	v_cvt_f32_f16_e32 v19, v19
	v_cvt_f32_f16_e32 v21, v21
	v_sub_f32_e32 v26, v26, v34
	v_cvt_f32_f16_e32 v23, v23
	s_delay_alu instid0(VALU_DEP_4)
	v_dual_mul_f32 v29, 0xbfb8aa3b, v17 :: v_dual_mul_f32 v32, 0xbfb8aa3b, v19
	v_fma_mix_f32 v36, v13, s13, -v27 op_sel_hi:[1,0,0]
	v_rndne_f32_e32 v37, v27
	v_fma_mix_f32 v39, v14, s13, -v28 op_sel_hi:[1,0,0]
	v_rndne_f32_e32 v40, v28
	v_fma_mix_f32 v33, v12, s14, v33 op_sel_hi:[1,0,0]
	v_add_f32_e32 v25, v25, v30
	v_dual_mul_f32 v35, 0xbfb8aa3b, v21 :: v_dual_mul_f32 v38, 0xbfb8aa3b, v23
	v_fma_mix_f32 v41, v11, s13, -v29 op_sel:[1,0,0] op_sel_hi:[1,0,0]
	v_rndne_f32_e32 v42, v29
	v_fma_mix_f32 v36, v13, s14, v36 op_sel_hi:[1,0,0]
	v_dual_sub_f32 v27, v27, v37 :: v_dual_sub_f32 v28, v28, v40
	v_fma_mix_f32 v39, v14, s14, v39 op_sel_hi:[1,0,0]
	v_add_f32_e32 v26, v26, v33
	v_exp_f32_e32 v25, v25
	v_fma_mix_f32 v43, v12, s13, -v32 op_sel:[1,0,0] op_sel_hi:[1,0,0]
	v_rndne_f32_e32 v44, v32
	v_cvt_i32_f32_e32 v31, v31
	v_fma_mix_f32 v45, v13, s13, -v35 op_sel:[1,0,0] op_sel_hi:[1,0,0]
	v_rndne_f32_e32 v46, v35
	v_fma_mix_f32 v47, v14, s13, -v38 op_sel:[1,0,0] op_sel_hi:[1,0,0]
	v_rndne_f32_e32 v48, v38
	v_fma_mix_f32 v11, v11, s14, v41 op_sel:[1,0,0] op_sel_hi:[1,0,0]
	v_dual_sub_f32 v29, v29, v42 :: v_dual_sub_f32 v30, v32, v44
	v_dual_add_f32 v27, v27, v36 :: v_dual_add_f32 v28, v28, v39
	v_fma_mix_f32 v12, v12, s14, v43 op_sel:[1,0,0] op_sel_hi:[1,0,0]
	v_fma_mix_f32 v13, v13, s14, v45 op_sel:[1,0,0] op_sel_hi:[1,0,0]
	v_dual_sub_f32 v33, v35, v46 :: v_dual_sub_f32 v36, v38, v48
	v_fma_mix_f32 v14, v14, s14, v47 op_sel:[1,0,0] op_sel_hi:[1,0,0]
	s_delay_alu instid0(VALU_DEP_4)
	v_dual_add_f32 v11, v29, v11 :: v_dual_add_f32 v12, v30, v12
	v_exp_f32_e32 v26, v26
	v_exp_f32_e32 v28, v28
	v_ldexp_f32 v25, v25, v31
	v_cmp_nlt_f32_e64 s2, 0x42ce8ed0, v18
	v_cvt_i32_f32_e32 v34, v34
	v_cvt_i32_f32_e32 v40, v40
	v_dual_add_f32 v13, v33, v13 :: v_dual_add_f32 v14, v36, v14
	v_exp_f32_e32 v27, v27
	v_exp_f32_e32 v11, v11
	v_cndmask_b32_e64 v25, 0, v25, s2
	v_cmp_ngt_f32_e64 s2, 0xc2b17218, v18
	v_exp_f32_e32 v12, v12
	v_cvt_i32_f32_e32 v37, v37
	v_cvt_i32_f32_e32 v41, v42
	v_exp_f32_e32 v13, v13
	v_exp_f32_e32 v14, v14
	v_ldexp_f32 v26, v26, v34
	v_cmp_nlt_f32_e32 vcc_lo, 0x42ce8ed0, v20
	v_ldexp_f32 v28, v28, v40
	v_cmp_nlt_f32_e64 s1, 0x42ce8ed0, v24
	v_cndmask_b32_e64 v25, 0x7f800000, v25, s2
	v_cvt_i32_f32_e32 v32, v44
	v_cvt_i32_f32_e32 v35, v46
	;; [unrolled: 1-line block ×3, first 2 shown]
	v_ldexp_f32 v27, v27, v37
	v_cmp_nlt_f32_e64 s0, 0x42ce8ed0, v22
	v_ldexp_f32 v11, v11, v41
	v_dual_cndmask_b32 v26, 0, v26 :: v_dual_add_f32 v25, 1.0, v25
	v_cndmask_b32_e64 v28, 0, v28, s1
	v_cmp_ngt_f32_e64 s1, 0xc2b17218, v24
	v_cmp_nlt_f32_e64 s6, 0x42ce8ed0, v17
	v_ldexp_f32 v12, v12, v32
	v_cmp_nlt_f32_e64 s3, 0x42ce8ed0, v19
	v_cmp_ngt_f32_e32 vcc_lo, 0xc2b17218, v20
	v_ldexp_f32 v13, v13, v35
	v_cmp_nlt_f32_e64 s4, 0x42ce8ed0, v21
	v_cndmask_b32_e64 v27, 0, v27, s0
	v_cmp_ngt_f32_e64 s0, 0xc2b17218, v22
	v_ldexp_f32 v14, v14, v38
	v_cmp_nlt_f32_e64 s5, 0x42ce8ed0, v23
	v_cndmask_b32_e64 v11, 0, v11, s6
	v_cndmask_b32_e64 v28, 0x7f800000, v28, s1
	v_cmp_ngt_f32_e64 s1, 0xc2b17218, v17
	v_div_scale_f32 v29, null, v25, v25, v18
	v_cndmask_b32_e64 v12, 0, v12, s3
	v_cmp_ngt_f32_e64 s2, 0xc2b17218, v19
	v_cndmask_b32_e64 v13, 0, v13, s4
	v_cndmask_b32_e64 v27, 0x7f800000, v27, s0
	v_cndmask_b32_e32 v26, 0x7f800000, v26, vcc_lo
	v_cmp_ngt_f32_e32 vcc_lo, 0xc2b17218, v21
	v_cndmask_b32_e64 v14, 0, v14, s5
	v_cmp_ngt_f32_e64 s0, 0xc2b17218, v23
	v_add_f32_e32 v27, 1.0, v27
	v_cndmask_b32_e64 v11, 0x7f800000, v11, s1
	v_rcp_f32_e32 v39, v29
	v_cndmask_b32_e64 v12, 0x7f800000, v12, s2
	v_dual_add_f32 v26, 1.0, v26 :: v_dual_cndmask_b32 v13, 0x7f800000, v13
	v_cndmask_b32_e64 v14, 0x7f800000, v14, s0
	v_dual_add_f32 v28, 1.0, v28 :: v_dual_add_f32 v11, 1.0, v11
	s_delay_alu instid0(VALU_DEP_3) | instskip(NEXT) | instid1(VALU_DEP_4)
	v_dual_add_f32 v12, 1.0, v12 :: v_dual_add_f32 v13, 1.0, v13
	v_div_scale_f32 v31, null, v26, v26, v20
	v_div_scale_f32 v33, null, v27, v27, v22
	s_delay_alu instid0(VALU_DEP_4)
	v_div_scale_f32 v35, null, v28, v28, v24
	v_div_scale_f32 v37, null, v11, v11, v17
	v_fma_f32 v53, -v29, v39, 1.0
	v_add_f32_e32 v14, 1.0, v14
	v_div_scale_f32 v40, null, v12, v12, v19
	v_rcp_f32_e32 v42, v31
	s_delay_alu instid0(VALU_DEP_3)
	v_fmac_f32_e32 v39, v53, v39
	v_div_scale_f32 v43, null, v13, v13, v21
	v_rcp_f32_e32 v45, v33
	v_div_scale_f32 v46, null, v14, v14, v23
	v_rcp_f32_e32 v48, v35
	v_rcp_f32_e32 v49, v37
	;; [unrolled: 1-line block ×5, first 2 shown]
	v_fma_f32 v54, -v31, v42, 1.0
	v_div_scale_f32 v30, s0, v18, v25, v18
	v_fma_f32 v55, -v33, v45, 1.0
	v_div_scale_f32 v32, s1, v20, v26, v20
	v_fma_f32 v56, -v35, v48, 1.0
	v_fma_f32 v57, -v37, v49, 1.0
	s_delay_alu instid0(TRANS32_DEP_3)
	v_fma_f32 v53, -v40, v50, 1.0
	v_div_scale_f32 v34, s2, v22, v27, v22
	v_div_scale_f32 v38, vcc_lo, v17, v11, v17
	v_dual_fmac_f32 v42, v54, v42 :: v_dual_fmac_f32 v45, v55, v45
	v_fma_f32 v54, -v43, v51, 1.0
	v_fma_f32 v55, -v46, v52, 1.0
	v_dual_fmac_f32 v48, v56, v48 :: v_dual_fmac_f32 v49, v57, v49
	v_div_scale_f32 v41, s4, v19, v12, v19
	v_mul_f32_e32 v56, v30, v39
	v_dual_fmac_f32 v50, v53, v50 :: v_dual_fmac_f32 v51, v54, v51
	v_div_scale_f32 v36, s3, v24, v28, v24
	v_dual_mul_f32 v53, v32, v42 :: v_dual_mul_f32 v54, v34, v45
	v_dual_fmac_f32 v52, v55, v52 :: v_dual_mul_f32 v57, v38, v49
	v_div_scale_f32 v44, s5, v21, v13, v21
	v_fma_f32 v58, -v29, v56, v30
	v_mul_f32_e32 v59, v41, v50
	v_mul_f32_e32 v55, v36, v48
	v_fma_f32 v60, -v31, v53, v32
	v_fma_f32 v62, -v33, v54, v34
	v_fmac_f32_e32 v56, v58, v39
	v_fma_f32 v65, -v37, v57, v38
	v_div_scale_f32 v47, s6, v23, v14, v23
	s_delay_alu instid0(VALU_DEP_4)
	v_dual_mul_f32 v61, v44, v51 :: v_dual_fmac_f32 v54, v62, v45
	v_fma_f32 v58, -v40, v59, v41
	v_fmac_f32_e32 v53, v60, v42
	v_fmac_f32_e32 v57, v65, v49
	v_mul_f32_e32 v63, v47, v52
	v_fma_f32 v64, -v35, v55, v36
	v_fma_f32 v60, -v43, v61, v44
	v_fmac_f32_e32 v59, v58, v50
	v_fma_f32 v29, -v29, v56, v30
	v_fma_f32 v30, -v31, v53, v32
	;; [unrolled: 1-line block ×5, first 2 shown]
	v_fmac_f32_e32 v55, v64, v48
	v_fmac_f32_e32 v61, v60, v51
	v_fma_f32 v34, -v40, v59, v41
	v_div_fmas_f32 v33, v33, v49, v57
	s_mov_b32 vcc_lo, s0
	v_fmac_f32_e32 v63, v62, v52
	v_div_fmas_f32 v29, v29, v39, v56
	s_mov_b32 vcc_lo, s4
	v_fma_f32 v32, -v35, v55, v36
	v_fma_f32 v35, -v43, v61, v44
	v_div_fmas_f32 v34, v34, v50, v59
	s_mov_b32 vcc_lo, s1
	v_div_fixup_f32 v11, v33, v11, v17
	v_div_fmas_f32 v17, v30, v42, v53
	s_mov_b32 vcc_lo, s5
	v_fma_f32 v36, -v46, v63, v47
	v_div_fixup_f32 v18, v29, v25, v18
	v_div_fmas_f32 v25, v35, v51, v61
	s_mov_b32 vcc_lo, s2
	v_div_fixup_f32 v12, v34, v12, v19
	v_div_fmas_f32 v19, v31, v45, v54
	s_mov_b32 vcc_lo, s6
	;; [unrolled: 3-line block ×3, first 2 shown]
	v_div_fixup_f32 v13, v25, v13, v21
	v_div_fmas_f32 v26, v32, v48, v55
	v_div_fixup_f32 v19, v19, v27, v22
	v_div_fixup_f32 v14, v20, v14, v23
	v_cvt_f16_f32_e32 v11, v11
	v_cvt_f16_f32_e32 v18, v18
	v_div_fixup_f32 v20, v26, v28, v24
	v_cvt_f16_f32_e32 v12, v12
	v_cvt_f16_f32_e32 v17, v17
	;; [unrolled: 1-line block ×6, first 2 shown]
	v_pack_b32_f16 v11, v18, v11
	v_pack_b32_f16 v12, v17, v12
	;; [unrolled: 1-line block ×3, first 2 shown]
	v_cmp_le_i32_e32 vcc_lo, s10, v0
	v_pack_b32_f16 v14, v20, v14
	s_waitcnt vmcnt(0)
	v_pk_mul_f16 v1, v11, v1
	v_pk_mul_f16 v2, v12, v2
	;; [unrolled: 1-line block ×3, first 2 shown]
	s_or_b32 s7, vcc_lo, s7
	v_pk_mul_f16 v4, v14, v4
	global_store_b128 v[15:16], v[1:4], off
	s_and_not1_b32 exec_lo, exec_lo, s7
	s_cbranch_execnz .LBB6_2
.LBB6_3:
	s_nop 0
	s_sendmsg sendmsg(MSG_DEALLOC_VGPRS)
	s_endpgm
	.section	.rodata,"a",@progbits
	.p2align	6, 0x0
	.amdhsa_kernel _ZN4vllm18act_and_mul_kernelIN3c104HalfE7__half2TnPFT_RKS4_EXadL_ZNS_11silu_kernelIS2_EES4_S6_EETnPFT0_RKSA_EXadL_ZNS_18packed_silu_kernelIS3_EES4_S6_EELb1ELb1ELb0ELb0EEEvPS4_PS5_if
		.amdhsa_group_segment_fixed_size 0
		.amdhsa_private_segment_fixed_size 0
		.amdhsa_kernarg_size 280
		.amdhsa_user_sgpr_count 15
		.amdhsa_user_sgpr_dispatch_ptr 0
		.amdhsa_user_sgpr_queue_ptr 0
		.amdhsa_user_sgpr_kernarg_segment_ptr 1
		.amdhsa_user_sgpr_dispatch_id 0
		.amdhsa_user_sgpr_private_segment_size 0
		.amdhsa_wavefront_size32 1
		.amdhsa_uses_dynamic_stack 0
		.amdhsa_enable_private_segment 0
		.amdhsa_system_sgpr_workgroup_id_x 1
		.amdhsa_system_sgpr_workgroup_id_y 0
		.amdhsa_system_sgpr_workgroup_id_z 0
		.amdhsa_system_sgpr_workgroup_info 0
		.amdhsa_system_vgpr_workitem_id 0
		.amdhsa_next_free_vgpr 66
		.amdhsa_next_free_sgpr 20
		.amdhsa_reserve_vcc 1
		.amdhsa_float_round_mode_32 0
		.amdhsa_float_round_mode_16_64 0
		.amdhsa_float_denorm_mode_32 3
		.amdhsa_float_denorm_mode_16_64 3
		.amdhsa_dx10_clamp 1
		.amdhsa_ieee_mode 1
		.amdhsa_fp16_overflow 0
		.amdhsa_workgroup_processor_mode 1
		.amdhsa_memory_ordered 1
		.amdhsa_forward_progress 0
		.amdhsa_shared_vgpr_count 0
		.amdhsa_exception_fp_ieee_invalid_op 0
		.amdhsa_exception_fp_denorm_src 0
		.amdhsa_exception_fp_ieee_div_zero 0
		.amdhsa_exception_fp_ieee_overflow 0
		.amdhsa_exception_fp_ieee_underflow 0
		.amdhsa_exception_fp_ieee_inexact 0
		.amdhsa_exception_int_div_zero 0
	.end_amdhsa_kernel
	.section	.text._ZN4vllm18act_and_mul_kernelIN3c104HalfE7__half2TnPFT_RKS4_EXadL_ZNS_11silu_kernelIS2_EES4_S6_EETnPFT0_RKSA_EXadL_ZNS_18packed_silu_kernelIS3_EES4_S6_EELb1ELb1ELb0ELb0EEEvPS4_PS5_if,"axG",@progbits,_ZN4vllm18act_and_mul_kernelIN3c104HalfE7__half2TnPFT_RKS4_EXadL_ZNS_11silu_kernelIS2_EES4_S6_EETnPFT0_RKSA_EXadL_ZNS_18packed_silu_kernelIS3_EES4_S6_EELb1ELb1ELb0ELb0EEEvPS4_PS5_if,comdat
.Lfunc_end6:
	.size	_ZN4vllm18act_and_mul_kernelIN3c104HalfE7__half2TnPFT_RKS4_EXadL_ZNS_11silu_kernelIS2_EES4_S6_EETnPFT0_RKSA_EXadL_ZNS_18packed_silu_kernelIS3_EES4_S6_EELb1ELb1ELb0ELb0EEEvPS4_PS5_if, .Lfunc_end6-_ZN4vllm18act_and_mul_kernelIN3c104HalfE7__half2TnPFT_RKS4_EXadL_ZNS_11silu_kernelIS2_EES4_S6_EETnPFT0_RKSA_EXadL_ZNS_18packed_silu_kernelIS3_EES4_S6_EELb1ELb1ELb0ELb0EEEvPS4_PS5_if
                                        ; -- End function
	.section	.AMDGPU.csdata,"",@progbits
; Kernel info:
; codeLenInByte = 1852
; NumSgprs: 22
; NumVgprs: 66
; ScratchSize: 0
; MemoryBound: 0
; FloatMode: 240
; IeeeMode: 1
; LDSByteSize: 0 bytes/workgroup (compile time only)
; SGPRBlocks: 2
; VGPRBlocks: 8
; NumSGPRsForWavesPerEU: 22
; NumVGPRsForWavesPerEU: 66
; Occupancy: 16
; WaveLimiterHint : 0
; COMPUTE_PGM_RSRC2:SCRATCH_EN: 0
; COMPUTE_PGM_RSRC2:USER_SGPR: 15
; COMPUTE_PGM_RSRC2:TRAP_HANDLER: 0
; COMPUTE_PGM_RSRC2:TGID_X_EN: 1
; COMPUTE_PGM_RSRC2:TGID_Y_EN: 0
; COMPUTE_PGM_RSRC2:TGID_Z_EN: 0
; COMPUTE_PGM_RSRC2:TIDIG_COMP_CNT: 0
	.section	.text._ZN4vllm18act_and_mul_kernelIN3c108BFloat16E15__hip_bfloat162TnPFT_RKS4_EXadL_ZNS_11silu_kernelIS2_EES4_S6_EETnPFT0_RKSA_EXadL_ZNS_18packed_silu_kernelIS3_EES4_S6_EELb1ELb1ELb0ELb0EEEvPS4_PS5_if,"axG",@progbits,_ZN4vllm18act_and_mul_kernelIN3c108BFloat16E15__hip_bfloat162TnPFT_RKS4_EXadL_ZNS_11silu_kernelIS2_EES4_S6_EETnPFT0_RKSA_EXadL_ZNS_18packed_silu_kernelIS3_EES4_S6_EELb1ELb1ELb0ELb0EEEvPS4_PS5_if,comdat
	.protected	_ZN4vllm18act_and_mul_kernelIN3c108BFloat16E15__hip_bfloat162TnPFT_RKS4_EXadL_ZNS_11silu_kernelIS2_EES4_S6_EETnPFT0_RKSA_EXadL_ZNS_18packed_silu_kernelIS3_EES4_S6_EELb1ELb1ELb0ELb0EEEvPS4_PS5_if ; -- Begin function _ZN4vllm18act_and_mul_kernelIN3c108BFloat16E15__hip_bfloat162TnPFT_RKS4_EXadL_ZNS_11silu_kernelIS2_EES4_S6_EETnPFT0_RKSA_EXadL_ZNS_18packed_silu_kernelIS3_EES4_S6_EELb1ELb1ELb0ELb0EEEvPS4_PS5_if
	.globl	_ZN4vllm18act_and_mul_kernelIN3c108BFloat16E15__hip_bfloat162TnPFT_RKS4_EXadL_ZNS_11silu_kernelIS2_EES4_S6_EETnPFT0_RKSA_EXadL_ZNS_18packed_silu_kernelIS3_EES4_S6_EELb1ELb1ELb0ELb0EEEvPS4_PS5_if
	.p2align	8
	.type	_ZN4vllm18act_and_mul_kernelIN3c108BFloat16E15__hip_bfloat162TnPFT_RKS4_EXadL_ZNS_11silu_kernelIS2_EES4_S6_EETnPFT0_RKSA_EXadL_ZNS_18packed_silu_kernelIS3_EES4_S6_EELb1ELb1ELb0ELb0EEEvPS4_PS5_if,@function
_ZN4vllm18act_and_mul_kernelIN3c108BFloat16E15__hip_bfloat162TnPFT_RKS4_EXadL_ZNS_11silu_kernelIS2_EES4_S6_EETnPFT0_RKSA_EXadL_ZNS_18packed_silu_kernelIS3_EES4_S6_EELb1ELb1ELb0ELb0EEEvPS4_PS5_if: ; @_ZN4vllm18act_and_mul_kernelIN3c108BFloat16E15__hip_bfloat162TnPFT_RKS4_EXadL_ZNS_11silu_kernelIS2_EES4_S6_EETnPFT0_RKSA_EXadL_ZNS_18packed_silu_kernelIS3_EES4_S6_EELb1ELb1ELb0ELb0EEEvPS4_PS5_if
; %bb.0:
	s_load_b32 s2, s[0:1], 0x10
	s_mov_b32 s5, exec_lo
	s_waitcnt lgkmcnt(0)
	s_ashr_i32 s3, s2, 31
	s_delay_alu instid0(SALU_CYCLE_1) | instskip(NEXT) | instid1(SALU_CYCLE_1)
	s_lshr_b32 s4, s3, 29
	s_add_i32 s4, s2, s4
	s_delay_alu instid0(SALU_CYCLE_1) | instskip(NEXT) | instid1(SALU_CYCLE_1)
	s_ashr_i32 s4, s4, 3
	v_cmpx_gt_i32_e64 s4, v0
	s_cbranch_execz .LBB7_67
; %bb.1:
	s_clause 0x1
	s_load_b32 s5, s[0:1], 0x24
	s_load_b128 s[8:11], s[0:1], 0x0
	s_mul_i32 s12, s15, s2
	s_mov_b32 s1, 0
	s_lshl_b32 s0, s12, 1
	v_lshlrev_b32_e32 v1, 4, v0
	s_lshl_b64 s[6:7], s[0:1], 1
	s_mov_b32 s13, s1
	s_waitcnt lgkmcnt(0)
	s_and_b32 s5, s5, 0xffff
	s_add_u32 s0, s10, s6
	s_addc_u32 s7, s11, s7
	v_add_co_u32 v9, s0, s0, v1
	s_lshl_b64 s[10:11], s[12:13], 1
	s_lshl_b32 s6, s5, 4
	s_lshl_b64 s[2:3], s[2:3], 1
	v_add_co_ci_u32_e64 v10, null, s7, 0, s0
	s_add_u32 s0, s8, s10
	s_addc_u32 s7, s9, s11
	v_add_co_u32 v11, vcc_lo, v9, s2
	v_add_co_u32 v13, s0, s0, v1
	v_add_co_ci_u32_e32 v12, vcc_lo, s3, v10, vcc_lo
	v_add_co_ci_u32_e64 v14, null, s7, 0, s0
	s_mov_b64 s[2:3], 0
	s_branch .LBB7_3
.LBB7_2:                                ;   in Loop: Header=BB7_3 Depth=1
	s_or_b32 exec_lo, exec_lo, s0
	v_add_nc_u32_e32 v0, s5, v0
	v_perm_b32 v1, v1, v5, 0x7060302
	v_add_co_u32 v5, s0, v13, s2
	v_perm_b32 v4, v4, v8, 0x7060302
	s_delay_alu instid0(VALU_DEP_4)
	v_cmp_le_i32_e32 vcc_lo, s4, v0
	v_perm_b32 v3, v3, v7, 0x7060302
	v_perm_b32 v2, v2, v6, 0x7060302
	v_add_co_ci_u32_e64 v6, s0, s3, v14, s0
	s_add_u32 s2, s2, s6
	s_addc_u32 s3, s3, 0
	s_or_b32 s1, vcc_lo, s1
	global_store_b128 v[5:6], v[1:4], off
	s_and_not1_b32 exec_lo, exec_lo, s1
	s_cbranch_execz .LBB7_67
.LBB7_3:                                ; =>This Inner Loop Header: Depth=1
	v_add_co_u32 v1, vcc_lo, v9, s2
	v_add_co_ci_u32_e32 v2, vcc_lo, s3, v10, vcc_lo
	global_load_b128 v[5:8], v[1:2], off
	v_add_co_u32 v1, vcc_lo, v11, s2
	v_add_co_ci_u32_e32 v2, vcc_lo, s3, v12, vcc_lo
	global_load_b128 v[1:4], v[1:2], off
	s_waitcnt vmcnt(1)
	v_lshlrev_b32_e32 v15, 16, v5
	s_delay_alu instid0(VALU_DEP_1) | instskip(NEXT) | instid1(VALU_DEP_1)
	v_mul_f32_e32 v16, 0xbfb8aa3b, v15
	v_fma_f32 v17, 0xbfb8aa3b, v15, -v16
	v_rndne_f32_e32 v18, v16
	s_delay_alu instid0(VALU_DEP_1) | instskip(SKIP_1) | instid1(VALU_DEP_4)
	v_sub_f32_e32 v16, v16, v18
	v_cmp_nlt_f32_e32 vcc_lo, 0x42ce8ed0, v15
	v_fmac_f32_e32 v17, 0xb2a5705f, v15
	s_delay_alu instid0(VALU_DEP_1) | instskip(SKIP_1) | instid1(VALU_DEP_2)
	v_add_f32_e32 v16, v16, v17
	v_cvt_i32_f32_e32 v17, v18
	v_exp_f32_e32 v16, v16
	s_waitcnt_depctr 0xfff
	v_ldexp_f32 v16, v16, v17
	s_delay_alu instid0(VALU_DEP_1) | instskip(SKIP_1) | instid1(VALU_DEP_2)
	v_cndmask_b32_e32 v16, 0, v16, vcc_lo
	v_cmp_ngt_f32_e32 vcc_lo, 0xc2b17218, v15
	v_cndmask_b32_e32 v16, 0x7f800000, v16, vcc_lo
	s_delay_alu instid0(VALU_DEP_1) | instskip(NEXT) | instid1(VALU_DEP_1)
	v_add_f32_e32 v16, 1.0, v16
	v_div_scale_f32 v17, null, v16, v16, v15
	s_delay_alu instid0(VALU_DEP_1) | instskip(SKIP_2) | instid1(VALU_DEP_1)
	v_rcp_f32_e32 v18, v17
	s_waitcnt_depctr 0xfff
	v_fma_f32 v19, -v17, v18, 1.0
	v_fmac_f32_e32 v18, v19, v18
	v_div_scale_f32 v19, vcc_lo, v15, v16, v15
	s_delay_alu instid0(VALU_DEP_1) | instskip(NEXT) | instid1(VALU_DEP_1)
	v_mul_f32_e32 v20, v19, v18
	v_fma_f32 v21, -v17, v20, v19
	s_delay_alu instid0(VALU_DEP_1) | instskip(NEXT) | instid1(VALU_DEP_1)
	v_fmac_f32_e32 v20, v21, v18
	v_fma_f32 v17, -v17, v20, v19
	s_delay_alu instid0(VALU_DEP_1) | instskip(NEXT) | instid1(VALU_DEP_1)
	v_div_fmas_f32 v17, v17, v18, v20
	v_div_fixup_f32 v16, v17, v16, v15
	s_delay_alu instid0(VALU_DEP_1) | instskip(NEXT) | instid1(VALU_DEP_1)
	v_and_b32_e32 v15, 0x7f800000, v16
	v_cmp_ne_u32_e32 vcc_lo, 0x7f800000, v15
                                        ; implicit-def: $vgpr15
	s_and_saveexec_b32 s0, vcc_lo
	s_delay_alu instid0(SALU_CYCLE_1)
	s_xor_b32 s0, exec_lo, s0
; %bb.4:                                ;   in Loop: Header=BB7_3 Depth=1
	v_bfe_u32 v15, v16, 16, 1
	s_delay_alu instid0(VALU_DEP_1)
	v_add3_u32 v15, v16, v15, 0x7fff
                                        ; implicit-def: $vgpr16
; %bb.5:                                ;   in Loop: Header=BB7_3 Depth=1
	s_and_not1_saveexec_b32 s0, s0
; %bb.6:                                ;   in Loop: Header=BB7_3 Depth=1
	v_and_b32_e32 v15, 0xffff, v16
	v_or_b32_e32 v17, 0x10000, v16
	s_delay_alu instid0(VALU_DEP_2) | instskip(NEXT) | instid1(VALU_DEP_2)
	v_cmp_eq_u32_e32 vcc_lo, 0, v15
	v_cndmask_b32_e32 v15, v17, v16, vcc_lo
; %bb.7:                                ;   in Loop: Header=BB7_3 Depth=1
	s_or_b32 exec_lo, exec_lo, s0
	v_and_b32_e32 v5, 0xffff0000, v5
	s_delay_alu instid0(VALU_DEP_1) | instskip(NEXT) | instid1(VALU_DEP_1)
	v_mul_f32_e32 v16, 0xbfb8aa3b, v5
	v_fma_f32 v17, 0xbfb8aa3b, v5, -v16
	v_rndne_f32_e32 v18, v16
	s_delay_alu instid0(VALU_DEP_1) | instskip(SKIP_1) | instid1(VALU_DEP_4)
	v_sub_f32_e32 v16, v16, v18
	v_cmp_nlt_f32_e32 vcc_lo, 0x42ce8ed0, v5
	v_fmac_f32_e32 v17, 0xb2a5705f, v5
	s_delay_alu instid0(VALU_DEP_1) | instskip(SKIP_1) | instid1(VALU_DEP_2)
	v_add_f32_e32 v16, v16, v17
	v_cvt_i32_f32_e32 v17, v18
	v_exp_f32_e32 v16, v16
	s_waitcnt_depctr 0xfff
	v_ldexp_f32 v16, v16, v17
	s_delay_alu instid0(VALU_DEP_1) | instskip(SKIP_1) | instid1(VALU_DEP_2)
	v_cndmask_b32_e32 v16, 0, v16, vcc_lo
	v_cmp_ngt_f32_e32 vcc_lo, 0xc2b17218, v5
	v_cndmask_b32_e32 v16, 0x7f800000, v16, vcc_lo
	s_delay_alu instid0(VALU_DEP_1) | instskip(NEXT) | instid1(VALU_DEP_1)
	v_add_f32_e32 v16, 1.0, v16
	v_div_scale_f32 v17, null, v16, v16, v5
	s_delay_alu instid0(VALU_DEP_1) | instskip(SKIP_2) | instid1(VALU_DEP_1)
	v_rcp_f32_e32 v18, v17
	s_waitcnt_depctr 0xfff
	v_fma_f32 v19, -v17, v18, 1.0
	v_fmac_f32_e32 v18, v19, v18
	v_div_scale_f32 v19, vcc_lo, v5, v16, v5
	s_delay_alu instid0(VALU_DEP_1) | instskip(NEXT) | instid1(VALU_DEP_1)
	v_mul_f32_e32 v20, v19, v18
	v_fma_f32 v21, -v17, v20, v19
	s_delay_alu instid0(VALU_DEP_1) | instskip(NEXT) | instid1(VALU_DEP_1)
	v_fmac_f32_e32 v20, v21, v18
	v_fma_f32 v17, -v17, v20, v19
	s_delay_alu instid0(VALU_DEP_1) | instskip(NEXT) | instid1(VALU_DEP_1)
	v_div_fmas_f32 v17, v17, v18, v20
	v_div_fixup_f32 v5, v17, v16, v5
	s_delay_alu instid0(VALU_DEP_1) | instskip(NEXT) | instid1(VALU_DEP_1)
	v_and_b32_e32 v16, 0x7f800000, v5
	v_cmp_ne_u32_e32 vcc_lo, 0x7f800000, v16
                                        ; implicit-def: $vgpr16
	s_and_saveexec_b32 s0, vcc_lo
	s_delay_alu instid0(SALU_CYCLE_1)
	s_xor_b32 s0, exec_lo, s0
; %bb.8:                                ;   in Loop: Header=BB7_3 Depth=1
	v_bfe_u32 v16, v5, 16, 1
	s_delay_alu instid0(VALU_DEP_1)
	v_add3_u32 v16, v5, v16, 0x7fff
                                        ; implicit-def: $vgpr5
; %bb.9:                                ;   in Loop: Header=BB7_3 Depth=1
	s_and_not1_saveexec_b32 s0, s0
; %bb.10:                               ;   in Loop: Header=BB7_3 Depth=1
	v_and_b32_e32 v16, 0xffff, v5
	v_or_b32_e32 v17, 0x10000, v5
	s_delay_alu instid0(VALU_DEP_2) | instskip(NEXT) | instid1(VALU_DEP_2)
	v_cmp_eq_u32_e32 vcc_lo, 0, v16
	v_cndmask_b32_e32 v16, v17, v5, vcc_lo
; %bb.11:                               ;   in Loop: Header=BB7_3 Depth=1
	s_or_b32 exec_lo, exec_lo, s0
	v_and_b32_e32 v5, 0xffff0000, v15
	s_waitcnt vmcnt(0)
	v_lshlrev_b32_e32 v15, 16, v1
	s_delay_alu instid0(VALU_DEP_1) | instskip(NEXT) | instid1(VALU_DEP_1)
	v_mul_f32_e32 v15, v15, v5
	v_and_b32_e32 v5, 0x7f800000, v15
	s_delay_alu instid0(VALU_DEP_1) | instskip(SKIP_1) | instid1(SALU_CYCLE_1)
	v_cmp_ne_u32_e32 vcc_lo, 0x7f800000, v5
                                        ; implicit-def: $vgpr5
	s_and_saveexec_b32 s0, vcc_lo
	s_xor_b32 s0, exec_lo, s0
; %bb.12:                               ;   in Loop: Header=BB7_3 Depth=1
	v_bfe_u32 v5, v15, 16, 1
	s_delay_alu instid0(VALU_DEP_1)
	v_add3_u32 v5, v15, v5, 0x7fff
                                        ; implicit-def: $vgpr15
; %bb.13:                               ;   in Loop: Header=BB7_3 Depth=1
	s_and_not1_saveexec_b32 s0, s0
; %bb.14:                               ;   in Loop: Header=BB7_3 Depth=1
	v_and_b32_e32 v5, 0xffff, v15
	v_or_b32_e32 v17, 0x10000, v15
	s_delay_alu instid0(VALU_DEP_2) | instskip(NEXT) | instid1(VALU_DEP_2)
	v_cmp_eq_u32_e32 vcc_lo, 0, v5
	v_cndmask_b32_e32 v5, v17, v15, vcc_lo
; %bb.15:                               ;   in Loop: Header=BB7_3 Depth=1
	s_or_b32 exec_lo, exec_lo, s0
	v_and_b32_e32 v15, 0xffff0000, v16
	v_and_b32_e32 v1, 0xffff0000, v1
	s_delay_alu instid0(VALU_DEP_1) | instskip(NEXT) | instid1(VALU_DEP_1)
	v_mul_f32_e32 v15, v1, v15
	v_and_b32_e32 v1, 0x7f800000, v15
	s_delay_alu instid0(VALU_DEP_1) | instskip(SKIP_1) | instid1(SALU_CYCLE_1)
	v_cmp_ne_u32_e32 vcc_lo, 0x7f800000, v1
                                        ; implicit-def: $vgpr1
	s_and_saveexec_b32 s0, vcc_lo
	s_xor_b32 s0, exec_lo, s0
; %bb.16:                               ;   in Loop: Header=BB7_3 Depth=1
	v_bfe_u32 v1, v15, 16, 1
	s_delay_alu instid0(VALU_DEP_1)
	v_add3_u32 v1, v15, v1, 0x7fff
                                        ; implicit-def: $vgpr15
; %bb.17:                               ;   in Loop: Header=BB7_3 Depth=1
	s_and_not1_saveexec_b32 s0, s0
; %bb.18:                               ;   in Loop: Header=BB7_3 Depth=1
	v_and_b32_e32 v1, 0xffff, v15
	v_or_b32_e32 v16, 0x10000, v15
	s_delay_alu instid0(VALU_DEP_2) | instskip(NEXT) | instid1(VALU_DEP_2)
	v_cmp_eq_u32_e32 vcc_lo, 0, v1
	v_cndmask_b32_e32 v1, v16, v15, vcc_lo
; %bb.19:                               ;   in Loop: Header=BB7_3 Depth=1
	s_or_b32 exec_lo, exec_lo, s0
	v_lshlrev_b32_e32 v15, 16, v6
	s_delay_alu instid0(VALU_DEP_1) | instskip(NEXT) | instid1(VALU_DEP_1)
	v_mul_f32_e32 v16, 0xbfb8aa3b, v15
	v_rndne_f32_e32 v17, v16
	v_fma_f32 v18, 0xbfb8aa3b, v15, -v16
	s_delay_alu instid0(VALU_DEP_2) | instskip(NEXT) | instid1(VALU_DEP_2)
	v_sub_f32_e32 v16, v16, v17
	v_fmac_f32_e32 v18, 0xb2a5705f, v15
	v_cvt_i32_f32_e32 v17, v17
	v_cmp_nlt_f32_e32 vcc_lo, 0x42ce8ed0, v15
	s_delay_alu instid0(VALU_DEP_3) | instskip(NEXT) | instid1(VALU_DEP_1)
	v_add_f32_e32 v16, v16, v18
	v_exp_f32_e32 v16, v16
	s_waitcnt_depctr 0xfff
	v_ldexp_f32 v16, v16, v17
	s_delay_alu instid0(VALU_DEP_1) | instskip(SKIP_1) | instid1(VALU_DEP_2)
	v_cndmask_b32_e32 v16, 0, v16, vcc_lo
	v_cmp_ngt_f32_e32 vcc_lo, 0xc2b17218, v15
	v_cndmask_b32_e32 v16, 0x7f800000, v16, vcc_lo
	s_delay_alu instid0(VALU_DEP_1) | instskip(NEXT) | instid1(VALU_DEP_1)
	v_add_f32_e32 v16, 1.0, v16
	v_div_scale_f32 v17, null, v16, v16, v15
	s_delay_alu instid0(VALU_DEP_1) | instskip(SKIP_2) | instid1(VALU_DEP_1)
	v_rcp_f32_e32 v18, v17
	s_waitcnt_depctr 0xfff
	v_fma_f32 v19, -v17, v18, 1.0
	v_fmac_f32_e32 v18, v19, v18
	v_div_scale_f32 v19, vcc_lo, v15, v16, v15
	s_delay_alu instid0(VALU_DEP_1) | instskip(NEXT) | instid1(VALU_DEP_1)
	v_mul_f32_e32 v20, v19, v18
	v_fma_f32 v21, -v17, v20, v19
	s_delay_alu instid0(VALU_DEP_1) | instskip(NEXT) | instid1(VALU_DEP_1)
	v_fmac_f32_e32 v20, v21, v18
	v_fma_f32 v17, -v17, v20, v19
	s_delay_alu instid0(VALU_DEP_1) | instskip(NEXT) | instid1(VALU_DEP_1)
	v_div_fmas_f32 v17, v17, v18, v20
	v_div_fixup_f32 v16, v17, v16, v15
	s_delay_alu instid0(VALU_DEP_1) | instskip(NEXT) | instid1(VALU_DEP_1)
	v_and_b32_e32 v15, 0x7f800000, v16
	v_cmp_ne_u32_e32 vcc_lo, 0x7f800000, v15
                                        ; implicit-def: $vgpr15
	s_and_saveexec_b32 s0, vcc_lo
	s_delay_alu instid0(SALU_CYCLE_1)
	s_xor_b32 s0, exec_lo, s0
; %bb.20:                               ;   in Loop: Header=BB7_3 Depth=1
	v_bfe_u32 v15, v16, 16, 1
	s_delay_alu instid0(VALU_DEP_1)
	v_add3_u32 v15, v16, v15, 0x7fff
                                        ; implicit-def: $vgpr16
; %bb.21:                               ;   in Loop: Header=BB7_3 Depth=1
	s_and_not1_saveexec_b32 s0, s0
; %bb.22:                               ;   in Loop: Header=BB7_3 Depth=1
	v_and_b32_e32 v15, 0xffff, v16
	v_or_b32_e32 v17, 0x10000, v16
	s_delay_alu instid0(VALU_DEP_2) | instskip(NEXT) | instid1(VALU_DEP_2)
	v_cmp_eq_u32_e32 vcc_lo, 0, v15
	v_cndmask_b32_e32 v15, v17, v16, vcc_lo
; %bb.23:                               ;   in Loop: Header=BB7_3 Depth=1
	s_or_b32 exec_lo, exec_lo, s0
	v_and_b32_e32 v6, 0xffff0000, v6
	s_delay_alu instid0(VALU_DEP_1) | instskip(SKIP_1) | instid1(VALU_DEP_2)
	v_mul_f32_e32 v16, 0xbfb8aa3b, v6
	v_cmp_nlt_f32_e32 vcc_lo, 0x42ce8ed0, v6
	v_fma_f32 v17, 0xbfb8aa3b, v6, -v16
	v_rndne_f32_e32 v18, v16
	s_delay_alu instid0(VALU_DEP_2) | instskip(NEXT) | instid1(VALU_DEP_2)
	v_fmac_f32_e32 v17, 0xb2a5705f, v6
	v_sub_f32_e32 v16, v16, v18
	s_delay_alu instid0(VALU_DEP_1) | instskip(SKIP_1) | instid1(VALU_DEP_2)
	v_add_f32_e32 v16, v16, v17
	v_cvt_i32_f32_e32 v17, v18
	v_exp_f32_e32 v16, v16
	s_waitcnt_depctr 0xfff
	v_ldexp_f32 v16, v16, v17
	s_delay_alu instid0(VALU_DEP_1) | instskip(SKIP_1) | instid1(VALU_DEP_2)
	v_cndmask_b32_e32 v16, 0, v16, vcc_lo
	v_cmp_ngt_f32_e32 vcc_lo, 0xc2b17218, v6
	v_cndmask_b32_e32 v16, 0x7f800000, v16, vcc_lo
	s_delay_alu instid0(VALU_DEP_1) | instskip(NEXT) | instid1(VALU_DEP_1)
	v_add_f32_e32 v16, 1.0, v16
	v_div_scale_f32 v17, null, v16, v16, v6
	s_delay_alu instid0(VALU_DEP_1) | instskip(SKIP_2) | instid1(VALU_DEP_1)
	v_rcp_f32_e32 v18, v17
	s_waitcnt_depctr 0xfff
	v_fma_f32 v19, -v17, v18, 1.0
	v_fmac_f32_e32 v18, v19, v18
	v_div_scale_f32 v19, vcc_lo, v6, v16, v6
	s_delay_alu instid0(VALU_DEP_1) | instskip(NEXT) | instid1(VALU_DEP_1)
	v_mul_f32_e32 v20, v19, v18
	v_fma_f32 v21, -v17, v20, v19
	s_delay_alu instid0(VALU_DEP_1) | instskip(NEXT) | instid1(VALU_DEP_1)
	v_fmac_f32_e32 v20, v21, v18
	v_fma_f32 v17, -v17, v20, v19
	s_delay_alu instid0(VALU_DEP_1) | instskip(NEXT) | instid1(VALU_DEP_1)
	v_div_fmas_f32 v17, v17, v18, v20
	v_div_fixup_f32 v6, v17, v16, v6
	s_delay_alu instid0(VALU_DEP_1) | instskip(NEXT) | instid1(VALU_DEP_1)
	v_and_b32_e32 v16, 0x7f800000, v6
	v_cmp_ne_u32_e32 vcc_lo, 0x7f800000, v16
                                        ; implicit-def: $vgpr16
	s_and_saveexec_b32 s0, vcc_lo
	s_delay_alu instid0(SALU_CYCLE_1)
	s_xor_b32 s0, exec_lo, s0
; %bb.24:                               ;   in Loop: Header=BB7_3 Depth=1
	v_bfe_u32 v16, v6, 16, 1
	s_delay_alu instid0(VALU_DEP_1)
	v_add3_u32 v16, v6, v16, 0x7fff
                                        ; implicit-def: $vgpr6
; %bb.25:                               ;   in Loop: Header=BB7_3 Depth=1
	s_and_not1_saveexec_b32 s0, s0
; %bb.26:                               ;   in Loop: Header=BB7_3 Depth=1
	v_and_b32_e32 v16, 0xffff, v6
	v_or_b32_e32 v17, 0x10000, v6
	s_delay_alu instid0(VALU_DEP_2) | instskip(NEXT) | instid1(VALU_DEP_2)
	v_cmp_eq_u32_e32 vcc_lo, 0, v16
	v_cndmask_b32_e32 v16, v17, v6, vcc_lo
; %bb.27:                               ;   in Loop: Header=BB7_3 Depth=1
	s_or_b32 exec_lo, exec_lo, s0
	v_and_b32_e32 v6, 0xffff0000, v15
	v_lshlrev_b32_e32 v15, 16, v2
	s_delay_alu instid0(VALU_DEP_1) | instskip(NEXT) | instid1(VALU_DEP_1)
	v_mul_f32_e32 v15, v15, v6
	v_and_b32_e32 v6, 0x7f800000, v15
	s_delay_alu instid0(VALU_DEP_1) | instskip(SKIP_1) | instid1(SALU_CYCLE_1)
	v_cmp_ne_u32_e32 vcc_lo, 0x7f800000, v6
                                        ; implicit-def: $vgpr6
	s_and_saveexec_b32 s0, vcc_lo
	s_xor_b32 s0, exec_lo, s0
; %bb.28:                               ;   in Loop: Header=BB7_3 Depth=1
	v_bfe_u32 v6, v15, 16, 1
	s_delay_alu instid0(VALU_DEP_1)
	v_add3_u32 v6, v15, v6, 0x7fff
                                        ; implicit-def: $vgpr15
; %bb.29:                               ;   in Loop: Header=BB7_3 Depth=1
	s_and_not1_saveexec_b32 s0, s0
; %bb.30:                               ;   in Loop: Header=BB7_3 Depth=1
	v_and_b32_e32 v6, 0xffff, v15
	v_or_b32_e32 v17, 0x10000, v15
	s_delay_alu instid0(VALU_DEP_2) | instskip(NEXT) | instid1(VALU_DEP_2)
	v_cmp_eq_u32_e32 vcc_lo, 0, v6
	v_cndmask_b32_e32 v6, v17, v15, vcc_lo
; %bb.31:                               ;   in Loop: Header=BB7_3 Depth=1
	s_or_b32 exec_lo, exec_lo, s0
	v_and_b32_e32 v15, 0xffff0000, v16
	v_and_b32_e32 v2, 0xffff0000, v2
	s_delay_alu instid0(VALU_DEP_1) | instskip(NEXT) | instid1(VALU_DEP_1)
	v_mul_f32_e32 v15, v2, v15
	v_and_b32_e32 v2, 0x7f800000, v15
	s_delay_alu instid0(VALU_DEP_1) | instskip(SKIP_1) | instid1(SALU_CYCLE_1)
	v_cmp_ne_u32_e32 vcc_lo, 0x7f800000, v2
                                        ; implicit-def: $vgpr2
	s_and_saveexec_b32 s0, vcc_lo
	s_xor_b32 s0, exec_lo, s0
; %bb.32:                               ;   in Loop: Header=BB7_3 Depth=1
	v_bfe_u32 v2, v15, 16, 1
	s_delay_alu instid0(VALU_DEP_1)
	v_add3_u32 v2, v15, v2, 0x7fff
                                        ; implicit-def: $vgpr15
; %bb.33:                               ;   in Loop: Header=BB7_3 Depth=1
	s_and_not1_saveexec_b32 s0, s0
; %bb.34:                               ;   in Loop: Header=BB7_3 Depth=1
	v_and_b32_e32 v2, 0xffff, v15
	v_or_b32_e32 v16, 0x10000, v15
	s_delay_alu instid0(VALU_DEP_2) | instskip(NEXT) | instid1(VALU_DEP_2)
	v_cmp_eq_u32_e32 vcc_lo, 0, v2
	v_cndmask_b32_e32 v2, v16, v15, vcc_lo
; %bb.35:                               ;   in Loop: Header=BB7_3 Depth=1
	s_or_b32 exec_lo, exec_lo, s0
	v_lshlrev_b32_e32 v15, 16, v7
	s_delay_alu instid0(VALU_DEP_1) | instskip(NEXT) | instid1(VALU_DEP_1)
	v_mul_f32_e32 v16, 0xbfb8aa3b, v15
	v_rndne_f32_e32 v17, v16
	v_fma_f32 v18, 0xbfb8aa3b, v15, -v16
	s_delay_alu instid0(VALU_DEP_2) | instskip(NEXT) | instid1(VALU_DEP_2)
	v_sub_f32_e32 v16, v16, v17
	v_fmac_f32_e32 v18, 0xb2a5705f, v15
	v_cvt_i32_f32_e32 v17, v17
	v_cmp_nlt_f32_e32 vcc_lo, 0x42ce8ed0, v15
	s_delay_alu instid0(VALU_DEP_3) | instskip(NEXT) | instid1(VALU_DEP_1)
	v_add_f32_e32 v16, v16, v18
	v_exp_f32_e32 v16, v16
	s_waitcnt_depctr 0xfff
	v_ldexp_f32 v16, v16, v17
	s_delay_alu instid0(VALU_DEP_1) | instskip(SKIP_1) | instid1(VALU_DEP_2)
	v_cndmask_b32_e32 v16, 0, v16, vcc_lo
	v_cmp_ngt_f32_e32 vcc_lo, 0xc2b17218, v15
	v_cndmask_b32_e32 v16, 0x7f800000, v16, vcc_lo
	s_delay_alu instid0(VALU_DEP_1) | instskip(NEXT) | instid1(VALU_DEP_1)
	v_add_f32_e32 v16, 1.0, v16
	v_div_scale_f32 v17, null, v16, v16, v15
	s_delay_alu instid0(VALU_DEP_1) | instskip(SKIP_2) | instid1(VALU_DEP_1)
	v_rcp_f32_e32 v18, v17
	s_waitcnt_depctr 0xfff
	v_fma_f32 v19, -v17, v18, 1.0
	v_fmac_f32_e32 v18, v19, v18
	v_div_scale_f32 v19, vcc_lo, v15, v16, v15
	s_delay_alu instid0(VALU_DEP_1) | instskip(NEXT) | instid1(VALU_DEP_1)
	v_mul_f32_e32 v20, v19, v18
	v_fma_f32 v21, -v17, v20, v19
	s_delay_alu instid0(VALU_DEP_1) | instskip(NEXT) | instid1(VALU_DEP_1)
	v_fmac_f32_e32 v20, v21, v18
	v_fma_f32 v17, -v17, v20, v19
	s_delay_alu instid0(VALU_DEP_1) | instskip(NEXT) | instid1(VALU_DEP_1)
	v_div_fmas_f32 v17, v17, v18, v20
	v_div_fixup_f32 v16, v17, v16, v15
	s_delay_alu instid0(VALU_DEP_1) | instskip(NEXT) | instid1(VALU_DEP_1)
	v_and_b32_e32 v15, 0x7f800000, v16
	v_cmp_ne_u32_e32 vcc_lo, 0x7f800000, v15
                                        ; implicit-def: $vgpr15
	s_and_saveexec_b32 s0, vcc_lo
	s_delay_alu instid0(SALU_CYCLE_1)
	s_xor_b32 s0, exec_lo, s0
; %bb.36:                               ;   in Loop: Header=BB7_3 Depth=1
	v_bfe_u32 v15, v16, 16, 1
	s_delay_alu instid0(VALU_DEP_1)
	v_add3_u32 v15, v16, v15, 0x7fff
                                        ; implicit-def: $vgpr16
; %bb.37:                               ;   in Loop: Header=BB7_3 Depth=1
	s_and_not1_saveexec_b32 s0, s0
; %bb.38:                               ;   in Loop: Header=BB7_3 Depth=1
	v_and_b32_e32 v15, 0xffff, v16
	v_or_b32_e32 v17, 0x10000, v16
	s_delay_alu instid0(VALU_DEP_2) | instskip(NEXT) | instid1(VALU_DEP_2)
	v_cmp_eq_u32_e32 vcc_lo, 0, v15
	v_cndmask_b32_e32 v15, v17, v16, vcc_lo
; %bb.39:                               ;   in Loop: Header=BB7_3 Depth=1
	s_or_b32 exec_lo, exec_lo, s0
	v_and_b32_e32 v7, 0xffff0000, v7
	s_delay_alu instid0(VALU_DEP_1) | instskip(NEXT) | instid1(VALU_DEP_1)
	v_mul_f32_e32 v16, 0xbfb8aa3b, v7
	v_fma_f32 v17, 0xbfb8aa3b, v7, -v16
	v_rndne_f32_e32 v18, v16
	s_delay_alu instid0(VALU_DEP_1) | instskip(SKIP_1) | instid1(VALU_DEP_4)
	v_sub_f32_e32 v16, v16, v18
	v_cmp_nlt_f32_e32 vcc_lo, 0x42ce8ed0, v7
	v_fmac_f32_e32 v17, 0xb2a5705f, v7
	s_delay_alu instid0(VALU_DEP_1) | instskip(SKIP_1) | instid1(VALU_DEP_2)
	v_add_f32_e32 v16, v16, v17
	v_cvt_i32_f32_e32 v17, v18
	v_exp_f32_e32 v16, v16
	s_waitcnt_depctr 0xfff
	v_ldexp_f32 v16, v16, v17
	s_delay_alu instid0(VALU_DEP_1) | instskip(SKIP_1) | instid1(VALU_DEP_2)
	v_cndmask_b32_e32 v16, 0, v16, vcc_lo
	v_cmp_ngt_f32_e32 vcc_lo, 0xc2b17218, v7
	v_cndmask_b32_e32 v16, 0x7f800000, v16, vcc_lo
	s_delay_alu instid0(VALU_DEP_1) | instskip(NEXT) | instid1(VALU_DEP_1)
	v_add_f32_e32 v16, 1.0, v16
	v_div_scale_f32 v17, null, v16, v16, v7
	s_delay_alu instid0(VALU_DEP_1) | instskip(SKIP_2) | instid1(VALU_DEP_1)
	v_rcp_f32_e32 v18, v17
	s_waitcnt_depctr 0xfff
	v_fma_f32 v19, -v17, v18, 1.0
	v_fmac_f32_e32 v18, v19, v18
	v_div_scale_f32 v19, vcc_lo, v7, v16, v7
	s_delay_alu instid0(VALU_DEP_1) | instskip(NEXT) | instid1(VALU_DEP_1)
	v_mul_f32_e32 v20, v19, v18
	v_fma_f32 v21, -v17, v20, v19
	s_delay_alu instid0(VALU_DEP_1) | instskip(NEXT) | instid1(VALU_DEP_1)
	v_fmac_f32_e32 v20, v21, v18
	v_fma_f32 v17, -v17, v20, v19
	s_delay_alu instid0(VALU_DEP_1) | instskip(NEXT) | instid1(VALU_DEP_1)
	v_div_fmas_f32 v17, v17, v18, v20
	v_div_fixup_f32 v7, v17, v16, v7
	s_delay_alu instid0(VALU_DEP_1) | instskip(NEXT) | instid1(VALU_DEP_1)
	v_and_b32_e32 v16, 0x7f800000, v7
	v_cmp_ne_u32_e32 vcc_lo, 0x7f800000, v16
                                        ; implicit-def: $vgpr16
	s_and_saveexec_b32 s0, vcc_lo
	s_delay_alu instid0(SALU_CYCLE_1)
	s_xor_b32 s0, exec_lo, s0
; %bb.40:                               ;   in Loop: Header=BB7_3 Depth=1
	v_bfe_u32 v16, v7, 16, 1
	s_delay_alu instid0(VALU_DEP_1)
	v_add3_u32 v16, v7, v16, 0x7fff
                                        ; implicit-def: $vgpr7
; %bb.41:                               ;   in Loop: Header=BB7_3 Depth=1
	s_and_not1_saveexec_b32 s0, s0
; %bb.42:                               ;   in Loop: Header=BB7_3 Depth=1
	v_and_b32_e32 v16, 0xffff, v7
	v_or_b32_e32 v17, 0x10000, v7
	s_delay_alu instid0(VALU_DEP_2) | instskip(NEXT) | instid1(VALU_DEP_2)
	v_cmp_eq_u32_e32 vcc_lo, 0, v16
	v_cndmask_b32_e32 v16, v17, v7, vcc_lo
; %bb.43:                               ;   in Loop: Header=BB7_3 Depth=1
	s_or_b32 exec_lo, exec_lo, s0
	v_and_b32_e32 v7, 0xffff0000, v15
	v_lshlrev_b32_e32 v15, 16, v3
	s_delay_alu instid0(VALU_DEP_1) | instskip(NEXT) | instid1(VALU_DEP_1)
	v_mul_f32_e32 v15, v15, v7
	v_and_b32_e32 v7, 0x7f800000, v15
	s_delay_alu instid0(VALU_DEP_1) | instskip(SKIP_1) | instid1(SALU_CYCLE_1)
	v_cmp_ne_u32_e32 vcc_lo, 0x7f800000, v7
                                        ; implicit-def: $vgpr7
	s_and_saveexec_b32 s0, vcc_lo
	s_xor_b32 s0, exec_lo, s0
; %bb.44:                               ;   in Loop: Header=BB7_3 Depth=1
	v_bfe_u32 v7, v15, 16, 1
	s_delay_alu instid0(VALU_DEP_1)
	v_add3_u32 v7, v15, v7, 0x7fff
                                        ; implicit-def: $vgpr15
; %bb.45:                               ;   in Loop: Header=BB7_3 Depth=1
	s_and_not1_saveexec_b32 s0, s0
; %bb.46:                               ;   in Loop: Header=BB7_3 Depth=1
	v_and_b32_e32 v7, 0xffff, v15
	v_or_b32_e32 v17, 0x10000, v15
	s_delay_alu instid0(VALU_DEP_2) | instskip(NEXT) | instid1(VALU_DEP_2)
	v_cmp_eq_u32_e32 vcc_lo, 0, v7
	v_cndmask_b32_e32 v7, v17, v15, vcc_lo
; %bb.47:                               ;   in Loop: Header=BB7_3 Depth=1
	s_or_b32 exec_lo, exec_lo, s0
	v_and_b32_e32 v15, 0xffff0000, v16
	v_and_b32_e32 v3, 0xffff0000, v3
	s_delay_alu instid0(VALU_DEP_1) | instskip(NEXT) | instid1(VALU_DEP_1)
	v_mul_f32_e32 v15, v3, v15
	v_and_b32_e32 v3, 0x7f800000, v15
	s_delay_alu instid0(VALU_DEP_1) | instskip(SKIP_1) | instid1(SALU_CYCLE_1)
	v_cmp_ne_u32_e32 vcc_lo, 0x7f800000, v3
                                        ; implicit-def: $vgpr3
	s_and_saveexec_b32 s0, vcc_lo
	s_xor_b32 s0, exec_lo, s0
; %bb.48:                               ;   in Loop: Header=BB7_3 Depth=1
	v_bfe_u32 v3, v15, 16, 1
	s_delay_alu instid0(VALU_DEP_1)
	v_add3_u32 v3, v15, v3, 0x7fff
                                        ; implicit-def: $vgpr15
; %bb.49:                               ;   in Loop: Header=BB7_3 Depth=1
	s_and_not1_saveexec_b32 s0, s0
; %bb.50:                               ;   in Loop: Header=BB7_3 Depth=1
	v_and_b32_e32 v3, 0xffff, v15
	v_or_b32_e32 v16, 0x10000, v15
	s_delay_alu instid0(VALU_DEP_2) | instskip(NEXT) | instid1(VALU_DEP_2)
	v_cmp_eq_u32_e32 vcc_lo, 0, v3
	v_cndmask_b32_e32 v3, v16, v15, vcc_lo
; %bb.51:                               ;   in Loop: Header=BB7_3 Depth=1
	s_or_b32 exec_lo, exec_lo, s0
	v_lshlrev_b32_e32 v15, 16, v8
	s_delay_alu instid0(VALU_DEP_1) | instskip(NEXT) | instid1(VALU_DEP_1)
	v_mul_f32_e32 v16, 0xbfb8aa3b, v15
	v_rndne_f32_e32 v17, v16
	v_fma_f32 v18, 0xbfb8aa3b, v15, -v16
	s_delay_alu instid0(VALU_DEP_2) | instskip(NEXT) | instid1(VALU_DEP_2)
	v_sub_f32_e32 v16, v16, v17
	v_fmac_f32_e32 v18, 0xb2a5705f, v15
	v_cvt_i32_f32_e32 v17, v17
	v_cmp_nlt_f32_e32 vcc_lo, 0x42ce8ed0, v15
	s_delay_alu instid0(VALU_DEP_3) | instskip(NEXT) | instid1(VALU_DEP_1)
	v_add_f32_e32 v16, v16, v18
	v_exp_f32_e32 v16, v16
	s_waitcnt_depctr 0xfff
	v_ldexp_f32 v16, v16, v17
	s_delay_alu instid0(VALU_DEP_1) | instskip(SKIP_1) | instid1(VALU_DEP_2)
	v_cndmask_b32_e32 v16, 0, v16, vcc_lo
	v_cmp_ngt_f32_e32 vcc_lo, 0xc2b17218, v15
	v_cndmask_b32_e32 v16, 0x7f800000, v16, vcc_lo
	s_delay_alu instid0(VALU_DEP_1) | instskip(NEXT) | instid1(VALU_DEP_1)
	v_add_f32_e32 v16, 1.0, v16
	v_div_scale_f32 v17, null, v16, v16, v15
	s_delay_alu instid0(VALU_DEP_1) | instskip(SKIP_2) | instid1(VALU_DEP_1)
	v_rcp_f32_e32 v18, v17
	s_waitcnt_depctr 0xfff
	v_fma_f32 v19, -v17, v18, 1.0
	v_fmac_f32_e32 v18, v19, v18
	v_div_scale_f32 v19, vcc_lo, v15, v16, v15
	s_delay_alu instid0(VALU_DEP_1) | instskip(NEXT) | instid1(VALU_DEP_1)
	v_mul_f32_e32 v20, v19, v18
	v_fma_f32 v21, -v17, v20, v19
	s_delay_alu instid0(VALU_DEP_1) | instskip(NEXT) | instid1(VALU_DEP_1)
	v_fmac_f32_e32 v20, v21, v18
	v_fma_f32 v17, -v17, v20, v19
	s_delay_alu instid0(VALU_DEP_1) | instskip(NEXT) | instid1(VALU_DEP_1)
	v_div_fmas_f32 v17, v17, v18, v20
	v_div_fixup_f32 v16, v17, v16, v15
	s_delay_alu instid0(VALU_DEP_1) | instskip(NEXT) | instid1(VALU_DEP_1)
	v_and_b32_e32 v15, 0x7f800000, v16
	v_cmp_ne_u32_e32 vcc_lo, 0x7f800000, v15
                                        ; implicit-def: $vgpr15
	s_and_saveexec_b32 s0, vcc_lo
	s_delay_alu instid0(SALU_CYCLE_1)
	s_xor_b32 s0, exec_lo, s0
; %bb.52:                               ;   in Loop: Header=BB7_3 Depth=1
	v_bfe_u32 v15, v16, 16, 1
	s_delay_alu instid0(VALU_DEP_1)
	v_add3_u32 v15, v16, v15, 0x7fff
                                        ; implicit-def: $vgpr16
; %bb.53:                               ;   in Loop: Header=BB7_3 Depth=1
	s_and_not1_saveexec_b32 s0, s0
; %bb.54:                               ;   in Loop: Header=BB7_3 Depth=1
	v_and_b32_e32 v15, 0xffff, v16
	v_or_b32_e32 v17, 0x10000, v16
	s_delay_alu instid0(VALU_DEP_2) | instskip(NEXT) | instid1(VALU_DEP_2)
	v_cmp_eq_u32_e32 vcc_lo, 0, v15
	v_cndmask_b32_e32 v15, v17, v16, vcc_lo
; %bb.55:                               ;   in Loop: Header=BB7_3 Depth=1
	s_or_b32 exec_lo, exec_lo, s0
	v_and_b32_e32 v8, 0xffff0000, v8
	s_delay_alu instid0(VALU_DEP_1) | instskip(SKIP_1) | instid1(VALU_DEP_2)
	v_mul_f32_e32 v16, 0xbfb8aa3b, v8
	v_cmp_nlt_f32_e32 vcc_lo, 0x42ce8ed0, v8
	v_fma_f32 v17, 0xbfb8aa3b, v8, -v16
	v_rndne_f32_e32 v18, v16
	s_delay_alu instid0(VALU_DEP_1) | instskip(NEXT) | instid1(VALU_DEP_1)
	v_dual_fmac_f32 v17, 0xb2a5705f, v8 :: v_dual_sub_f32 v16, v16, v18
	v_add_f32_e32 v16, v16, v17
	v_cvt_i32_f32_e32 v17, v18
	s_delay_alu instid0(VALU_DEP_2) | instskip(SKIP_2) | instid1(VALU_DEP_1)
	v_exp_f32_e32 v16, v16
	s_waitcnt_depctr 0xfff
	v_ldexp_f32 v16, v16, v17
	v_cndmask_b32_e32 v16, 0, v16, vcc_lo
	v_cmp_ngt_f32_e32 vcc_lo, 0xc2b17218, v8
	s_delay_alu instid0(VALU_DEP_2) | instskip(NEXT) | instid1(VALU_DEP_1)
	v_cndmask_b32_e32 v16, 0x7f800000, v16, vcc_lo
	v_add_f32_e32 v16, 1.0, v16
	s_delay_alu instid0(VALU_DEP_1) | instskip(NEXT) | instid1(VALU_DEP_1)
	v_div_scale_f32 v17, null, v16, v16, v8
	v_rcp_f32_e32 v18, v17
	s_waitcnt_depctr 0xfff
	v_fma_f32 v19, -v17, v18, 1.0
	s_delay_alu instid0(VALU_DEP_1) | instskip(SKIP_1) | instid1(VALU_DEP_1)
	v_fmac_f32_e32 v18, v19, v18
	v_div_scale_f32 v19, vcc_lo, v8, v16, v8
	v_mul_f32_e32 v20, v19, v18
	s_delay_alu instid0(VALU_DEP_1) | instskip(NEXT) | instid1(VALU_DEP_1)
	v_fma_f32 v21, -v17, v20, v19
	v_fmac_f32_e32 v20, v21, v18
	s_delay_alu instid0(VALU_DEP_1) | instskip(NEXT) | instid1(VALU_DEP_1)
	v_fma_f32 v17, -v17, v20, v19
	v_div_fmas_f32 v17, v17, v18, v20
	s_delay_alu instid0(VALU_DEP_1) | instskip(NEXT) | instid1(VALU_DEP_1)
	v_div_fixup_f32 v8, v17, v16, v8
	v_and_b32_e32 v16, 0x7f800000, v8
	s_delay_alu instid0(VALU_DEP_1) | instskip(SKIP_1) | instid1(SALU_CYCLE_1)
	v_cmp_ne_u32_e32 vcc_lo, 0x7f800000, v16
                                        ; implicit-def: $vgpr16
	s_and_saveexec_b32 s0, vcc_lo
	s_xor_b32 s0, exec_lo, s0
; %bb.56:                               ;   in Loop: Header=BB7_3 Depth=1
	v_bfe_u32 v16, v8, 16, 1
	s_delay_alu instid0(VALU_DEP_1)
	v_add3_u32 v16, v8, v16, 0x7fff
                                        ; implicit-def: $vgpr8
; %bb.57:                               ;   in Loop: Header=BB7_3 Depth=1
	s_and_not1_saveexec_b32 s0, s0
; %bb.58:                               ;   in Loop: Header=BB7_3 Depth=1
	v_and_b32_e32 v16, 0xffff, v8
	v_or_b32_e32 v17, 0x10000, v8
	s_delay_alu instid0(VALU_DEP_2) | instskip(NEXT) | instid1(VALU_DEP_2)
	v_cmp_eq_u32_e32 vcc_lo, 0, v16
	v_cndmask_b32_e32 v16, v17, v8, vcc_lo
; %bb.59:                               ;   in Loop: Header=BB7_3 Depth=1
	s_or_b32 exec_lo, exec_lo, s0
	v_and_b32_e32 v8, 0xffff0000, v15
	v_lshlrev_b32_e32 v15, 16, v4
	s_delay_alu instid0(VALU_DEP_1) | instskip(NEXT) | instid1(VALU_DEP_1)
	v_mul_f32_e32 v15, v15, v8
	v_and_b32_e32 v8, 0x7f800000, v15
	s_delay_alu instid0(VALU_DEP_1) | instskip(SKIP_1) | instid1(SALU_CYCLE_1)
	v_cmp_ne_u32_e32 vcc_lo, 0x7f800000, v8
                                        ; implicit-def: $vgpr8
	s_and_saveexec_b32 s0, vcc_lo
	s_xor_b32 s0, exec_lo, s0
; %bb.60:                               ;   in Loop: Header=BB7_3 Depth=1
	v_bfe_u32 v8, v15, 16, 1
	s_delay_alu instid0(VALU_DEP_1)
	v_add3_u32 v8, v15, v8, 0x7fff
                                        ; implicit-def: $vgpr15
; %bb.61:                               ;   in Loop: Header=BB7_3 Depth=1
	s_and_not1_saveexec_b32 s0, s0
; %bb.62:                               ;   in Loop: Header=BB7_3 Depth=1
	v_and_b32_e32 v8, 0xffff, v15
	v_or_b32_e32 v17, 0x10000, v15
	s_delay_alu instid0(VALU_DEP_2) | instskip(NEXT) | instid1(VALU_DEP_2)
	v_cmp_eq_u32_e32 vcc_lo, 0, v8
	v_cndmask_b32_e32 v8, v17, v15, vcc_lo
; %bb.63:                               ;   in Loop: Header=BB7_3 Depth=1
	s_or_b32 exec_lo, exec_lo, s0
	v_and_b32_e32 v15, 0xffff0000, v16
	v_and_b32_e32 v4, 0xffff0000, v4
	s_delay_alu instid0(VALU_DEP_1) | instskip(NEXT) | instid1(VALU_DEP_1)
	v_mul_f32_e32 v15, v4, v15
	v_and_b32_e32 v4, 0x7f800000, v15
	s_delay_alu instid0(VALU_DEP_1) | instskip(SKIP_1) | instid1(SALU_CYCLE_1)
	v_cmp_ne_u32_e32 vcc_lo, 0x7f800000, v4
                                        ; implicit-def: $vgpr4
	s_and_saveexec_b32 s0, vcc_lo
	s_xor_b32 s0, exec_lo, s0
; %bb.64:                               ;   in Loop: Header=BB7_3 Depth=1
	v_bfe_u32 v4, v15, 16, 1
	s_delay_alu instid0(VALU_DEP_1)
	v_add3_u32 v4, v15, v4, 0x7fff
                                        ; implicit-def: $vgpr15
; %bb.65:                               ;   in Loop: Header=BB7_3 Depth=1
	s_and_not1_saveexec_b32 s0, s0
	s_cbranch_execz .LBB7_2
; %bb.66:                               ;   in Loop: Header=BB7_3 Depth=1
	v_and_b32_e32 v4, 0xffff, v15
	v_or_b32_e32 v16, 0x10000, v15
	s_delay_alu instid0(VALU_DEP_2) | instskip(NEXT) | instid1(VALU_DEP_2)
	v_cmp_eq_u32_e32 vcc_lo, 0, v4
	v_cndmask_b32_e32 v4, v16, v15, vcc_lo
	s_branch .LBB7_2
.LBB7_67:
	s_nop 0
	s_sendmsg sendmsg(MSG_DEALLOC_VGPRS)
	s_endpgm
	.section	.rodata,"a",@progbits
	.p2align	6, 0x0
	.amdhsa_kernel _ZN4vllm18act_and_mul_kernelIN3c108BFloat16E15__hip_bfloat162TnPFT_RKS4_EXadL_ZNS_11silu_kernelIS2_EES4_S6_EETnPFT0_RKSA_EXadL_ZNS_18packed_silu_kernelIS3_EES4_S6_EELb1ELb1ELb0ELb0EEEvPS4_PS5_if
		.amdhsa_group_segment_fixed_size 0
		.amdhsa_private_segment_fixed_size 0
		.amdhsa_kernarg_size 280
		.amdhsa_user_sgpr_count 15
		.amdhsa_user_sgpr_dispatch_ptr 0
		.amdhsa_user_sgpr_queue_ptr 0
		.amdhsa_user_sgpr_kernarg_segment_ptr 1
		.amdhsa_user_sgpr_dispatch_id 0
		.amdhsa_user_sgpr_private_segment_size 0
		.amdhsa_wavefront_size32 1
		.amdhsa_uses_dynamic_stack 0
		.amdhsa_enable_private_segment 0
		.amdhsa_system_sgpr_workgroup_id_x 1
		.amdhsa_system_sgpr_workgroup_id_y 0
		.amdhsa_system_sgpr_workgroup_id_z 0
		.amdhsa_system_sgpr_workgroup_info 0
		.amdhsa_system_vgpr_workitem_id 0
		.amdhsa_next_free_vgpr 22
		.amdhsa_next_free_sgpr 16
		.amdhsa_reserve_vcc 1
		.amdhsa_float_round_mode_32 0
		.amdhsa_float_round_mode_16_64 0
		.amdhsa_float_denorm_mode_32 3
		.amdhsa_float_denorm_mode_16_64 3
		.amdhsa_dx10_clamp 1
		.amdhsa_ieee_mode 1
		.amdhsa_fp16_overflow 0
		.amdhsa_workgroup_processor_mode 1
		.amdhsa_memory_ordered 1
		.amdhsa_forward_progress 0
		.amdhsa_shared_vgpr_count 0
		.amdhsa_exception_fp_ieee_invalid_op 0
		.amdhsa_exception_fp_denorm_src 0
		.amdhsa_exception_fp_ieee_div_zero 0
		.amdhsa_exception_fp_ieee_overflow 0
		.amdhsa_exception_fp_ieee_underflow 0
		.amdhsa_exception_fp_ieee_inexact 0
		.amdhsa_exception_int_div_zero 0
	.end_amdhsa_kernel
	.section	.text._ZN4vllm18act_and_mul_kernelIN3c108BFloat16E15__hip_bfloat162TnPFT_RKS4_EXadL_ZNS_11silu_kernelIS2_EES4_S6_EETnPFT0_RKSA_EXadL_ZNS_18packed_silu_kernelIS3_EES4_S6_EELb1ELb1ELb0ELb0EEEvPS4_PS5_if,"axG",@progbits,_ZN4vllm18act_and_mul_kernelIN3c108BFloat16E15__hip_bfloat162TnPFT_RKS4_EXadL_ZNS_11silu_kernelIS2_EES4_S6_EETnPFT0_RKSA_EXadL_ZNS_18packed_silu_kernelIS3_EES4_S6_EELb1ELb1ELb0ELb0EEEvPS4_PS5_if,comdat
.Lfunc_end7:
	.size	_ZN4vllm18act_and_mul_kernelIN3c108BFloat16E15__hip_bfloat162TnPFT_RKS4_EXadL_ZNS_11silu_kernelIS2_EES4_S6_EETnPFT0_RKSA_EXadL_ZNS_18packed_silu_kernelIS3_EES4_S6_EELb1ELb1ELb0ELb0EEEvPS4_PS5_if, .Lfunc_end7-_ZN4vllm18act_and_mul_kernelIN3c108BFloat16E15__hip_bfloat162TnPFT_RKS4_EXadL_ZNS_11silu_kernelIS2_EES4_S6_EETnPFT0_RKSA_EXadL_ZNS_18packed_silu_kernelIS3_EES4_S6_EELb1ELb1ELb0ELb0EEEvPS4_PS5_if
                                        ; -- End function
	.section	.AMDGPU.csdata,"",@progbits
; Kernel info:
; codeLenInByte = 3652
; NumSgprs: 18
; NumVgprs: 22
; ScratchSize: 0
; MemoryBound: 0
; FloatMode: 240
; IeeeMode: 1
; LDSByteSize: 0 bytes/workgroup (compile time only)
; SGPRBlocks: 2
; VGPRBlocks: 2
; NumSGPRsForWavesPerEU: 18
; NumVGPRsForWavesPerEU: 22
; Occupancy: 16
; WaveLimiterHint : 0
; COMPUTE_PGM_RSRC2:SCRATCH_EN: 0
; COMPUTE_PGM_RSRC2:USER_SGPR: 15
; COMPUTE_PGM_RSRC2:TRAP_HANDLER: 0
; COMPUTE_PGM_RSRC2:TGID_X_EN: 1
; COMPUTE_PGM_RSRC2:TGID_Y_EN: 0
; COMPUTE_PGM_RSRC2:TGID_Z_EN: 0
; COMPUTE_PGM_RSRC2:TIDIG_COMP_CNT: 0
	.section	.text._ZN4vllm18act_and_mul_kernelIf15HIP_vector_typeIfLj2EETnPFT_RKS3_EXadL_ZNS_11silu_kernelIfEES3_S5_EETnPFT0_RKS9_EXadL_ZNS_18packed_silu_kernelIS2_EES3_S5_EELb1ELb0ELb0ELb0EEEvPS3_PS4_if,"axG",@progbits,_ZN4vllm18act_and_mul_kernelIf15HIP_vector_typeIfLj2EETnPFT_RKS3_EXadL_ZNS_11silu_kernelIfEES3_S5_EETnPFT0_RKS9_EXadL_ZNS_18packed_silu_kernelIS2_EES3_S5_EELb1ELb0ELb0ELb0EEEvPS3_PS4_if,comdat
	.protected	_ZN4vllm18act_and_mul_kernelIf15HIP_vector_typeIfLj2EETnPFT_RKS3_EXadL_ZNS_11silu_kernelIfEES3_S5_EETnPFT0_RKS9_EXadL_ZNS_18packed_silu_kernelIS2_EES3_S5_EELb1ELb0ELb0ELb0EEEvPS3_PS4_if ; -- Begin function _ZN4vllm18act_and_mul_kernelIf15HIP_vector_typeIfLj2EETnPFT_RKS3_EXadL_ZNS_11silu_kernelIfEES3_S5_EETnPFT0_RKS9_EXadL_ZNS_18packed_silu_kernelIS2_EES3_S5_EELb1ELb0ELb0ELb0EEEvPS3_PS4_if
	.globl	_ZN4vllm18act_and_mul_kernelIf15HIP_vector_typeIfLj2EETnPFT_RKS3_EXadL_ZNS_11silu_kernelIfEES3_S5_EETnPFT0_RKS9_EXadL_ZNS_18packed_silu_kernelIS2_EES3_S5_EELb1ELb0ELb0ELb0EEEvPS3_PS4_if
	.p2align	8
	.type	_ZN4vllm18act_and_mul_kernelIf15HIP_vector_typeIfLj2EETnPFT_RKS3_EXadL_ZNS_11silu_kernelIfEES3_S5_EETnPFT0_RKS9_EXadL_ZNS_18packed_silu_kernelIS2_EES3_S5_EELb1ELb0ELb0ELb0EEEvPS3_PS4_if,@function
_ZN4vllm18act_and_mul_kernelIf15HIP_vector_typeIfLj2EETnPFT_RKS3_EXadL_ZNS_11silu_kernelIfEES3_S5_EETnPFT0_RKS9_EXadL_ZNS_18packed_silu_kernelIS2_EES3_S5_EELb1ELb0ELb0ELb0EEEvPS3_PS4_if: ; @_ZN4vllm18act_and_mul_kernelIf15HIP_vector_typeIfLj2EETnPFT_RKS3_EXadL_ZNS_11silu_kernelIfEES3_S5_EETnPFT0_RKS9_EXadL_ZNS_18packed_silu_kernelIS2_EES3_S5_EELb1ELb0ELb0ELb0EEEvPS3_PS4_if
; %bb.0:
	s_load_b32 s2, s[0:1], 0x10
	s_mov_b32 s3, exec_lo
	s_waitcnt lgkmcnt(0)
	v_cmpx_gt_i32_e64 s2, v0
	s_cbranch_execz .LBB8_3
; %bb.1:
	s_clause 0x1
	s_load_b128 s[8:11], s[0:1], 0x0
	s_load_b32 s14, s[0:1], 0x24
	s_mul_i32 s12, s15, s2
	s_mov_b32 s1, 0
	s_lshl_b32 s0, s12, 1
	v_dual_mov_b32 v1, 0 :: v_dual_lshlrev_b32 v2, 2, v0
	s_lshl_b64 s[4:5], s[0:1], 2
	s_mov_b32 s13, s1
	s_delay_alu instid0(VALU_DEP_1) | instskip(SKIP_4) | instid1(SALU_CYCLE_1)
	v_mov_b32_e32 v3, v1
	s_waitcnt lgkmcnt(0)
	s_add_u32 s4, s10, s4
	s_addc_u32 s5, s11, s5
	s_ashr_i32 s3, s2, 31
	s_lshl_b64 s[6:7], s[2:3], 2
	s_delay_alu instid0(SALU_CYCLE_1) | instskip(SKIP_2) | instid1(SALU_CYCLE_1)
	s_add_u32 s6, s4, s6
	s_addc_u32 s7, s5, s7
	s_lshl_b64 s[10:11], s[12:13], 2
	s_add_u32 s8, s8, s10
	s_addc_u32 s9, s9, s11
	s_and_b32 s10, s14, 0xffff
	s_delay_alu instid0(SALU_CYCLE_1)
	s_lshl_b32 s11, s10, 2
.LBB8_2:                                ; =>This Inner Loop Header: Depth=1
	v_add_co_u32 v4, vcc_lo, s4, v2
	v_add_co_ci_u32_e32 v5, vcc_lo, s5, v3, vcc_lo
	v_add_co_u32 v0, s0, v0, s10
	s_delay_alu instid0(VALU_DEP_1)
	v_add_co_ci_u32_e64 v1, s0, 0, v1, s0
	global_load_b32 v6, v[4:5], off
	v_add_co_u32 v4, vcc_lo, s6, v2
	v_add_co_ci_u32_e32 v5, vcc_lo, s7, v3, vcc_lo
	global_load_b32 v7, v[4:5], off
	s_waitcnt vmcnt(1)
	v_mul_f32_e32 v4, 0xbfb8aa3b, v6
	v_cmp_nlt_f32_e32 vcc_lo, 0x42ce8ed0, v6
	s_delay_alu instid0(VALU_DEP_2) | instskip(SKIP_1) | instid1(VALU_DEP_1)
	v_fma_f32 v5, 0xbfb8aa3b, v6, -v4
	v_rndne_f32_e32 v8, v4
	v_dual_fmac_f32 v5, 0xb2a5705f, v6 :: v_dual_sub_f32 v4, v4, v8
	s_delay_alu instid0(VALU_DEP_1) | instskip(SKIP_1) | instid1(VALU_DEP_2)
	v_add_f32_e32 v4, v4, v5
	v_cvt_i32_f32_e32 v5, v8
	v_exp_f32_e32 v4, v4
	s_waitcnt_depctr 0xfff
	v_ldexp_f32 v4, v4, v5
	s_delay_alu instid0(VALU_DEP_1) | instskip(SKIP_1) | instid1(VALU_DEP_2)
	v_cndmask_b32_e32 v4, 0, v4, vcc_lo
	v_cmp_ngt_f32_e32 vcc_lo, 0xc2b17218, v6
	v_cndmask_b32_e32 v4, 0x7f800000, v4, vcc_lo
	s_delay_alu instid0(VALU_DEP_1) | instskip(NEXT) | instid1(VALU_DEP_1)
	v_add_f32_e32 v8, 1.0, v4
	v_div_scale_f32 v4, null, v8, v8, v6
	v_div_scale_f32 v10, vcc_lo, v6, v8, v6
	s_delay_alu instid0(VALU_DEP_2) | instskip(SKIP_2) | instid1(VALU_DEP_1)
	v_rcp_f32_e32 v5, v4
	s_waitcnt_depctr 0xfff
	v_fma_f32 v9, -v4, v5, 1.0
	v_fmac_f32_e32 v5, v9, v5
	s_delay_alu instid0(VALU_DEP_1) | instskip(NEXT) | instid1(VALU_DEP_1)
	v_mul_f32_e32 v9, v10, v5
	v_fma_f32 v11, -v4, v9, v10
	s_delay_alu instid0(VALU_DEP_1) | instskip(NEXT) | instid1(VALU_DEP_1)
	v_fmac_f32_e32 v9, v11, v5
	v_fma_f32 v4, -v4, v9, v10
	s_delay_alu instid0(VALU_DEP_1) | instskip(SKIP_2) | instid1(VALU_DEP_3)
	v_div_fmas_f32 v9, v4, v5, v9
	v_add_co_u32 v4, vcc_lo, s8, v2
	v_add_co_ci_u32_e32 v5, vcc_lo, s9, v3, vcc_lo
	v_div_fixup_f32 v6, v9, v8, v6
	v_cmp_le_i64_e32 vcc_lo, s[2:3], v[0:1]
	v_add_co_u32 v2, s0, v2, s11
	s_delay_alu instid0(VALU_DEP_1)
	v_add_co_ci_u32_e64 v3, s0, 0, v3, s0
	s_waitcnt vmcnt(0)
	v_mul_f32_e32 v6, v7, v6
	s_or_b32 s1, vcc_lo, s1
	global_store_b32 v[4:5], v6, off
	s_and_not1_b32 exec_lo, exec_lo, s1
	s_cbranch_execnz .LBB8_2
.LBB8_3:
	s_nop 0
	s_sendmsg sendmsg(MSG_DEALLOC_VGPRS)
	s_endpgm
	.section	.rodata,"a",@progbits
	.p2align	6, 0x0
	.amdhsa_kernel _ZN4vllm18act_and_mul_kernelIf15HIP_vector_typeIfLj2EETnPFT_RKS3_EXadL_ZNS_11silu_kernelIfEES3_S5_EETnPFT0_RKS9_EXadL_ZNS_18packed_silu_kernelIS2_EES3_S5_EELb1ELb0ELb0ELb0EEEvPS3_PS4_if
		.amdhsa_group_segment_fixed_size 0
		.amdhsa_private_segment_fixed_size 0
		.amdhsa_kernarg_size 280
		.amdhsa_user_sgpr_count 15
		.amdhsa_user_sgpr_dispatch_ptr 0
		.amdhsa_user_sgpr_queue_ptr 0
		.amdhsa_user_sgpr_kernarg_segment_ptr 1
		.amdhsa_user_sgpr_dispatch_id 0
		.amdhsa_user_sgpr_private_segment_size 0
		.amdhsa_wavefront_size32 1
		.amdhsa_uses_dynamic_stack 0
		.amdhsa_enable_private_segment 0
		.amdhsa_system_sgpr_workgroup_id_x 1
		.amdhsa_system_sgpr_workgroup_id_y 0
		.amdhsa_system_sgpr_workgroup_id_z 0
		.amdhsa_system_sgpr_workgroup_info 0
		.amdhsa_system_vgpr_workitem_id 0
		.amdhsa_next_free_vgpr 12
		.amdhsa_next_free_sgpr 16
		.amdhsa_reserve_vcc 1
		.amdhsa_float_round_mode_32 0
		.amdhsa_float_round_mode_16_64 0
		.amdhsa_float_denorm_mode_32 3
		.amdhsa_float_denorm_mode_16_64 3
		.amdhsa_dx10_clamp 1
		.amdhsa_ieee_mode 1
		.amdhsa_fp16_overflow 0
		.amdhsa_workgroup_processor_mode 1
		.amdhsa_memory_ordered 1
		.amdhsa_forward_progress 0
		.amdhsa_shared_vgpr_count 0
		.amdhsa_exception_fp_ieee_invalid_op 0
		.amdhsa_exception_fp_denorm_src 0
		.amdhsa_exception_fp_ieee_div_zero 0
		.amdhsa_exception_fp_ieee_overflow 0
		.amdhsa_exception_fp_ieee_underflow 0
		.amdhsa_exception_fp_ieee_inexact 0
		.amdhsa_exception_int_div_zero 0
	.end_amdhsa_kernel
	.section	.text._ZN4vllm18act_and_mul_kernelIf15HIP_vector_typeIfLj2EETnPFT_RKS3_EXadL_ZNS_11silu_kernelIfEES3_S5_EETnPFT0_RKS9_EXadL_ZNS_18packed_silu_kernelIS2_EES3_S5_EELb1ELb0ELb0ELb0EEEvPS3_PS4_if,"axG",@progbits,_ZN4vllm18act_and_mul_kernelIf15HIP_vector_typeIfLj2EETnPFT_RKS3_EXadL_ZNS_11silu_kernelIfEES3_S5_EETnPFT0_RKS9_EXadL_ZNS_18packed_silu_kernelIS2_EES3_S5_EELb1ELb0ELb0ELb0EEEvPS3_PS4_if,comdat
.Lfunc_end8:
	.size	_ZN4vllm18act_and_mul_kernelIf15HIP_vector_typeIfLj2EETnPFT_RKS3_EXadL_ZNS_11silu_kernelIfEES3_S5_EETnPFT0_RKS9_EXadL_ZNS_18packed_silu_kernelIS2_EES3_S5_EELb1ELb0ELb0ELb0EEEvPS3_PS4_if, .Lfunc_end8-_ZN4vllm18act_and_mul_kernelIf15HIP_vector_typeIfLj2EETnPFT_RKS3_EXadL_ZNS_11silu_kernelIfEES3_S5_EETnPFT0_RKS9_EXadL_ZNS_18packed_silu_kernelIS2_EES3_S5_EELb1ELb0ELb0ELb0EEEvPS3_PS4_if
                                        ; -- End function
	.section	.AMDGPU.csdata,"",@progbits
; Kernel info:
; codeLenInByte = 484
; NumSgprs: 18
; NumVgprs: 12
; ScratchSize: 0
; MemoryBound: 0
; FloatMode: 240
; IeeeMode: 1
; LDSByteSize: 0 bytes/workgroup (compile time only)
; SGPRBlocks: 2
; VGPRBlocks: 1
; NumSGPRsForWavesPerEU: 18
; NumVGPRsForWavesPerEU: 12
; Occupancy: 16
; WaveLimiterHint : 0
; COMPUTE_PGM_RSRC2:SCRATCH_EN: 0
; COMPUTE_PGM_RSRC2:USER_SGPR: 15
; COMPUTE_PGM_RSRC2:TRAP_HANDLER: 0
; COMPUTE_PGM_RSRC2:TGID_X_EN: 1
; COMPUTE_PGM_RSRC2:TGID_Y_EN: 0
; COMPUTE_PGM_RSRC2:TGID_Z_EN: 0
; COMPUTE_PGM_RSRC2:TIDIG_COMP_CNT: 0
	.section	.text._ZN4vllm18act_and_mul_kernelIN3c104HalfE7__half2TnPFT_RKS4_EXadL_ZNS_11silu_kernelIS2_EES4_S6_EETnPFT0_RKSA_EXadL_ZNS_18packed_silu_kernelIS3_EES4_S6_EELb1ELb0ELb0ELb0EEEvPS4_PS5_if,"axG",@progbits,_ZN4vllm18act_and_mul_kernelIN3c104HalfE7__half2TnPFT_RKS4_EXadL_ZNS_11silu_kernelIS2_EES4_S6_EETnPFT0_RKSA_EXadL_ZNS_18packed_silu_kernelIS3_EES4_S6_EELb1ELb0ELb0ELb0EEEvPS4_PS5_if,comdat
	.protected	_ZN4vllm18act_and_mul_kernelIN3c104HalfE7__half2TnPFT_RKS4_EXadL_ZNS_11silu_kernelIS2_EES4_S6_EETnPFT0_RKSA_EXadL_ZNS_18packed_silu_kernelIS3_EES4_S6_EELb1ELb0ELb0ELb0EEEvPS4_PS5_if ; -- Begin function _ZN4vllm18act_and_mul_kernelIN3c104HalfE7__half2TnPFT_RKS4_EXadL_ZNS_11silu_kernelIS2_EES4_S6_EETnPFT0_RKSA_EXadL_ZNS_18packed_silu_kernelIS3_EES4_S6_EELb1ELb0ELb0ELb0EEEvPS4_PS5_if
	.globl	_ZN4vllm18act_and_mul_kernelIN3c104HalfE7__half2TnPFT_RKS4_EXadL_ZNS_11silu_kernelIS2_EES4_S6_EETnPFT0_RKSA_EXadL_ZNS_18packed_silu_kernelIS3_EES4_S6_EELb1ELb0ELb0ELb0EEEvPS4_PS5_if
	.p2align	8
	.type	_ZN4vllm18act_and_mul_kernelIN3c104HalfE7__half2TnPFT_RKS4_EXadL_ZNS_11silu_kernelIS2_EES4_S6_EETnPFT0_RKSA_EXadL_ZNS_18packed_silu_kernelIS3_EES4_S6_EELb1ELb0ELb0ELb0EEEvPS4_PS5_if,@function
_ZN4vllm18act_and_mul_kernelIN3c104HalfE7__half2TnPFT_RKS4_EXadL_ZNS_11silu_kernelIS2_EES4_S6_EETnPFT0_RKSA_EXadL_ZNS_18packed_silu_kernelIS3_EES4_S6_EELb1ELb0ELb0ELb0EEEvPS4_PS5_if: ; @_ZN4vllm18act_and_mul_kernelIN3c104HalfE7__half2TnPFT_RKS4_EXadL_ZNS_11silu_kernelIS2_EES4_S6_EETnPFT0_RKSA_EXadL_ZNS_18packed_silu_kernelIS3_EES4_S6_EELb1ELb0ELb0ELb0EEEvPS4_PS5_if
; %bb.0:
	s_load_b32 s8, s[0:1], 0x10
	s_mov_b32 s2, exec_lo
	s_waitcnt lgkmcnt(0)
	v_cmpx_gt_i32_e64 s8, v0
	s_cbranch_execz .LBB9_12
; %bb.1:
	s_load_b32 s2, s[0:1], 0x24
	s_ashr_i32 s9, s8, 31
	s_waitcnt lgkmcnt(0)
	s_and_b32 s14, s2, 0xffff
	s_delay_alu instid0(SALU_CYCLE_1) | instskip(NEXT) | instid1(VALU_DEP_1)
	v_add_co_u32 v1, s2, v0, s14
	v_add_co_ci_u32_e64 v2, null, 0, 0, s2
	s_delay_alu instid0(VALU_DEP_1) | instskip(SKIP_1) | instid1(VALU_DEP_2)
	v_cmp_gt_i64_e64 s2, s[8:9], v[1:2]
	v_cmp_lt_i64_e32 vcc_lo, s[8:9], v[1:2]
	v_cndmask_b32_e64 v6, 0, 1, s2
	v_cndmask_b32_e32 v3, s9, v2, vcc_lo
	v_cndmask_b32_e32 v4, s8, v1, vcc_lo
	s_mov_b32 s2, exec_lo
	s_delay_alu instid0(VALU_DEP_3) | instskip(SKIP_2) | instid1(VALU_DEP_3)
	v_add_co_u32 v5, vcc_lo, v1, v6
	v_mov_b32_e32 v1, 0
	v_add_co_ci_u32_e32 v2, vcc_lo, 0, v2, vcc_lo
	v_sub_co_u32 v7, vcc_lo, v4, v5
                                        ; implicit-def: $vgpr4_vgpr5
	s_delay_alu instid0(VALU_DEP_2) | instskip(NEXT) | instid1(VALU_DEP_4)
	v_sub_co_ci_u32_e32 v3, vcc_lo, v3, v2, vcc_lo
	v_mov_b32_e32 v2, v1
	s_delay_alu instid0(VALU_DEP_1)
	v_cmpx_ne_u64_e32 0, v[2:3]
	s_xor_b32 s3, exec_lo, s2
	s_cbranch_execz .LBB9_3
; %bb.2:
	v_cvt_f32_u32_e32 v2, s14
	s_sub_u32 s2, 0, s14
	s_subb_u32 s4, 0, 0
	s_delay_alu instid0(VALU_DEP_1) | instskip(NEXT) | instid1(VALU_DEP_1)
	v_fmamk_f32 v2, 0, 0x4f800000, v2
	v_rcp_f32_e32 v2, v2
	s_waitcnt_depctr 0xfff
	v_mul_f32_e32 v2, 0x5f7ffffc, v2
	s_delay_alu instid0(VALU_DEP_1) | instskip(NEXT) | instid1(VALU_DEP_1)
	v_mul_f32_e32 v4, 0x2f800000, v2
	v_trunc_f32_e32 v4, v4
	s_delay_alu instid0(VALU_DEP_1) | instskip(SKIP_1) | instid1(VALU_DEP_2)
	v_fmamk_f32 v2, v4, 0xcf800000, v2
	v_cvt_u32_f32_e32 v4, v4
	v_cvt_u32_f32_e32 v2, v2
	s_delay_alu instid0(VALU_DEP_2) | instskip(NEXT) | instid1(VALU_DEP_2)
	v_mul_lo_u32 v5, s2, v4
	v_mul_hi_u32 v8, s2, v2
	v_mul_lo_u32 v9, s4, v2
	s_delay_alu instid0(VALU_DEP_2) | instskip(SKIP_1) | instid1(VALU_DEP_2)
	v_add_nc_u32_e32 v5, v8, v5
	v_mul_lo_u32 v8, s2, v2
	v_add_nc_u32_e32 v5, v5, v9
	s_delay_alu instid0(VALU_DEP_2) | instskip(NEXT) | instid1(VALU_DEP_2)
	v_mul_hi_u32 v9, v2, v8
	v_mul_lo_u32 v10, v2, v5
	v_mul_hi_u32 v11, v2, v5
	v_mul_hi_u32 v12, v4, v8
	v_mul_lo_u32 v8, v4, v8
	v_mul_hi_u32 v13, v4, v5
	v_mul_lo_u32 v5, v4, v5
	v_add_co_u32 v9, vcc_lo, v9, v10
	v_add_co_ci_u32_e32 v10, vcc_lo, 0, v11, vcc_lo
	s_delay_alu instid0(VALU_DEP_2) | instskip(NEXT) | instid1(VALU_DEP_2)
	v_add_co_u32 v8, vcc_lo, v9, v8
	v_add_co_ci_u32_e32 v8, vcc_lo, v10, v12, vcc_lo
	v_add_co_ci_u32_e32 v9, vcc_lo, 0, v13, vcc_lo
	s_delay_alu instid0(VALU_DEP_2) | instskip(NEXT) | instid1(VALU_DEP_2)
	v_add_co_u32 v5, vcc_lo, v8, v5
	v_add_co_ci_u32_e32 v8, vcc_lo, 0, v9, vcc_lo
	s_delay_alu instid0(VALU_DEP_2) | instskip(NEXT) | instid1(VALU_DEP_2)
	v_add_co_u32 v2, vcc_lo, v2, v5
	v_add_co_ci_u32_e32 v4, vcc_lo, v4, v8, vcc_lo
	s_delay_alu instid0(VALU_DEP_2) | instskip(SKIP_1) | instid1(VALU_DEP_3)
	v_mul_hi_u32 v5, s2, v2
	v_mul_lo_u32 v9, s4, v2
	v_mul_lo_u32 v8, s2, v4
	s_delay_alu instid0(VALU_DEP_1) | instskip(SKIP_1) | instid1(VALU_DEP_2)
	v_add_nc_u32_e32 v5, v5, v8
	v_mul_lo_u32 v8, s2, v2
	v_add_nc_u32_e32 v5, v5, v9
	s_delay_alu instid0(VALU_DEP_2) | instskip(NEXT) | instid1(VALU_DEP_2)
	v_mul_hi_u32 v9, v2, v8
	v_mul_lo_u32 v10, v2, v5
	v_mul_hi_u32 v11, v2, v5
	v_mul_hi_u32 v12, v4, v8
	v_mul_lo_u32 v8, v4, v8
	v_mul_hi_u32 v13, v4, v5
	v_mul_lo_u32 v5, v4, v5
	v_add_co_u32 v9, vcc_lo, v9, v10
	v_add_co_ci_u32_e32 v10, vcc_lo, 0, v11, vcc_lo
	s_delay_alu instid0(VALU_DEP_2) | instskip(NEXT) | instid1(VALU_DEP_2)
	v_add_co_u32 v8, vcc_lo, v9, v8
	v_add_co_ci_u32_e32 v8, vcc_lo, v10, v12, vcc_lo
	v_add_co_ci_u32_e32 v9, vcc_lo, 0, v13, vcc_lo
	s_delay_alu instid0(VALU_DEP_2) | instskip(NEXT) | instid1(VALU_DEP_2)
	v_add_co_u32 v5, vcc_lo, v8, v5
	v_add_co_ci_u32_e32 v8, vcc_lo, 0, v9, vcc_lo
	s_delay_alu instid0(VALU_DEP_2) | instskip(NEXT) | instid1(VALU_DEP_2)
	v_add_co_u32 v2, vcc_lo, v2, v5
	v_add_co_ci_u32_e32 v12, vcc_lo, v4, v8, vcc_lo
	s_delay_alu instid0(VALU_DEP_2) | instskip(SKIP_1) | instid1(VALU_DEP_3)
	v_mul_hi_u32 v13, v7, v2
	v_mad_u64_u32 v[8:9], null, v3, v2, 0
	v_mad_u64_u32 v[4:5], null, v7, v12, 0
	;; [unrolled: 1-line block ×3, first 2 shown]
	s_delay_alu instid0(VALU_DEP_2) | instskip(NEXT) | instid1(VALU_DEP_3)
	v_add_co_u32 v2, vcc_lo, v13, v4
	v_add_co_ci_u32_e32 v4, vcc_lo, 0, v5, vcc_lo
	s_delay_alu instid0(VALU_DEP_2) | instskip(NEXT) | instid1(VALU_DEP_2)
	v_add_co_u32 v2, vcc_lo, v2, v8
	v_add_co_ci_u32_e32 v2, vcc_lo, v4, v9, vcc_lo
	v_add_co_ci_u32_e32 v4, vcc_lo, 0, v11, vcc_lo
	s_delay_alu instid0(VALU_DEP_2) | instskip(NEXT) | instid1(VALU_DEP_2)
	v_add_co_u32 v10, vcc_lo, v2, v10
	v_add_co_ci_u32_e32 v11, vcc_lo, 0, v4, vcc_lo
	s_delay_alu instid0(VALU_DEP_2) | instskip(NEXT) | instid1(VALU_DEP_1)
	v_mad_u64_u32 v[4:5], null, s14, v10, 0
	v_mov_b32_e32 v2, v5
	s_delay_alu instid0(VALU_DEP_1) | instskip(NEXT) | instid1(VALU_DEP_3)
	v_mad_u64_u32 v[8:9], null, s14, v11, v[2:3]
	v_sub_co_u32 v2, vcc_lo, v7, v4
	s_delay_alu instid0(VALU_DEP_2) | instskip(NEXT) | instid1(VALU_DEP_2)
	v_sub_co_ci_u32_e32 v3, vcc_lo, v3, v8, vcc_lo
	v_sub_co_u32 v4, vcc_lo, v2, s14
	s_delay_alu instid0(VALU_DEP_2) | instskip(NEXT) | instid1(VALU_DEP_2)
	v_subrev_co_ci_u32_e32 v5, vcc_lo, 0, v3, vcc_lo
	v_cmp_le_u32_e32 vcc_lo, s14, v4
	v_cmp_eq_u32_e64 s2, 0, v3
	v_cndmask_b32_e64 v4, 0, -1, vcc_lo
	v_add_co_u32 v7, vcc_lo, v10, 2
	v_add_co_ci_u32_e32 v8, vcc_lo, 0, v11, vcc_lo
	v_cmp_le_u32_e32 vcc_lo, s14, v2
	v_cndmask_b32_e64 v2, 0, -1, vcc_lo
	v_cmp_eq_u32_e32 vcc_lo, 0, v5
	s_delay_alu instid0(VALU_DEP_2) | instskip(SKIP_3) | instid1(VALU_DEP_3)
	v_cndmask_b32_e64 v2, -1, v2, s2
	v_cndmask_b32_e32 v4, -1, v4, vcc_lo
	v_add_co_u32 v5, vcc_lo, v10, 1
	v_add_co_ci_u32_e32 v9, vcc_lo, 0, v11, vcc_lo
	v_cmp_ne_u32_e32 vcc_lo, 0, v4
	s_delay_alu instid0(VALU_DEP_2) | instskip(NEXT) | instid1(VALU_DEP_4)
	v_cndmask_b32_e32 v3, v9, v8, vcc_lo
	v_cndmask_b32_e32 v4, v5, v7, vcc_lo
	v_cmp_ne_u32_e32 vcc_lo, 0, v2
                                        ; implicit-def: $vgpr7
	s_delay_alu instid0(VALU_DEP_2)
	v_dual_cndmask_b32 v5, v11, v3 :: v_dual_cndmask_b32 v4, v10, v4
.LBB9_3:
	s_or_saveexec_b32 s2, s3
	s_load_b128 s[4:7], s[0:1], 0x0
	s_xor_b32 exec_lo, exec_lo, s2
	s_cbranch_execz .LBB9_5
; %bb.4:
	v_cvt_f32_u32_e32 v2, s14
	s_sub_i32 s0, 0, s14
	s_delay_alu instid0(VALU_DEP_1) | instskip(SKIP_2) | instid1(VALU_DEP_1)
	v_rcp_iflag_f32_e32 v2, v2
	s_waitcnt_depctr 0xfff
	v_mul_f32_e32 v2, 0x4f7ffffe, v2
	v_cvt_u32_f32_e32 v2, v2
	s_delay_alu instid0(VALU_DEP_1) | instskip(NEXT) | instid1(VALU_DEP_1)
	v_mul_lo_u32 v3, s0, v2
	v_mul_hi_u32 v3, v2, v3
	s_delay_alu instid0(VALU_DEP_1) | instskip(NEXT) | instid1(VALU_DEP_1)
	v_add_nc_u32_e32 v2, v2, v3
	v_mul_hi_u32 v2, v7, v2
	s_delay_alu instid0(VALU_DEP_1) | instskip(SKIP_1) | instid1(VALU_DEP_2)
	v_mul_lo_u32 v3, v2, s14
	v_add_nc_u32_e32 v4, 1, v2
	v_sub_nc_u32_e32 v3, v7, v3
	s_delay_alu instid0(VALU_DEP_1) | instskip(SKIP_1) | instid1(VALU_DEP_2)
	v_subrev_nc_u32_e32 v5, s14, v3
	v_cmp_le_u32_e32 vcc_lo, s14, v3
	v_cndmask_b32_e32 v3, v3, v5, vcc_lo
	v_dual_mov_b32 v5, 0 :: v_dual_cndmask_b32 v2, v2, v4
	s_delay_alu instid0(VALU_DEP_2) | instskip(NEXT) | instid1(VALU_DEP_2)
	v_cmp_le_u32_e32 vcc_lo, s14, v3
	v_add_nc_u32_e32 v4, 1, v2
	s_delay_alu instid0(VALU_DEP_1)
	v_cndmask_b32_e32 v4, v2, v4, vcc_lo
.LBB9_5:
	s_or_b32 exec_lo, exec_lo, s2
	s_delay_alu instid0(VALU_DEP_1) | instskip(SKIP_2) | instid1(VALU_DEP_3)
	v_add_co_u32 v2, vcc_lo, v4, v6
	v_add_co_ci_u32_e32 v3, vcc_lo, 0, v5, vcc_lo
	v_cmp_eq_u16_e64 s0, s14, 1
	v_add_co_u32 v2, vcc_lo, v2, 1
	s_delay_alu instid0(VALU_DEP_3) | instskip(SKIP_3) | instid1(VALU_DEP_1)
	v_add_co_ci_u32_e32 v3, vcc_lo, 0, v3, vcc_lo
	s_mul_i32 s2, s15, s8
	s_mov_b32 s11, 0
	s_lshl_b32 s10, s2, 1
	v_cmp_lt_u64_e32 vcc_lo, 1, v[2:3]
	s_mov_b32 s3, s11
	s_and_b32 s12, vcc_lo, s0
	s_mov_b32 s0, -1
	s_and_saveexec_b32 s1, s12
	s_cbranch_execz .LBB9_9
; %bb.6:
	v_lshlrev_b32_e32 v6, 1, v0
	s_lshl_b64 s[12:13], s[10:11], 1
	v_dual_mov_b32 v5, v3 :: v_dual_and_b32 v4, -2, v2
	s_waitcnt lgkmcnt(0)
	s_add_u32 s0, s6, s12
	s_addc_u32 s12, s7, s13
	v_add_co_u32 v8, s0, s0, v6
	s_lshl_b64 s[16:17], s[2:3], 1
	v_add_co_ci_u32_e64 v9, null, s12, 0, s0
	s_lshl_b32 s15, s14, 2
	s_lshl_b64 s[12:13], s[8:9], 1
	s_add_u32 s0, s4, s16
	v_add_co_u32 v10, vcc_lo, v8, s12
	s_addc_u32 s12, s5, s17
	v_add_co_u32 v12, s0, s0, v6
	v_add_co_ci_u32_e32 v11, vcc_lo, s13, v9, vcc_lo
	v_add_co_ci_u32_e64 v13, null, s12, 0, s0
	v_dual_mov_b32 v7, v5 :: v_dual_mov_b32 v6, v4
	s_mov_b64 s[12:13], 0
	s_mov_b32 s16, 0x3fb8aa3b
	s_mov_b32 s18, 0x32a5705f
	;; [unrolled: 1-line block ×3, first 2 shown]
.LBB9_7:                                ; =>This Inner Loop Header: Depth=1
	v_add_co_u32 v14, vcc_lo, v8, s12
	v_add_co_ci_u32_e32 v15, vcc_lo, s13, v9, vcc_lo
	global_load_b32 v16, v[14:15], off
	v_add_co_u32 v14, vcc_lo, v10, s12
	v_add_co_ci_u32_e32 v15, vcc_lo, s13, v11, vcc_lo
	global_load_b32 v17, v[14:15], off
	s_waitcnt vmcnt(1)
	v_lshrrev_b32_e32 v14, 16, v16
	v_cvt_f32_f16_e64 v15, -v16
	v_cvt_f32_f16_e32 v18, v16
	s_delay_alu instid0(VALU_DEP_3) | instskip(NEXT) | instid1(VALU_DEP_3)
	v_cvt_f32_f16_e64 v19, -v14
	v_cmp_ngt_f32_e32 vcc_lo, 0xc2ce8ed0, v15
	v_cvt_f32_f16_e32 v14, v14
	s_delay_alu instid0(VALU_DEP_3) | instskip(SKIP_1) | instid1(VALU_DEP_2)
	v_mul_f32_e32 v21, 0x3fb8aa3b, v19
	v_cmp_ngt_f32_e64 s0, 0xc2ce8ed0, v19
	v_rndne_f32_e32 v25, v21
	v_mul_f32_e32 v20, 0x3fb8aa3b, v15
	v_fma_mix_f32 v24, -v16, s16, -v21 op_sel:[1,0,0] op_sel_hi:[1,0,0]
	s_delay_alu instid0(VALU_DEP_3) | instskip(NEXT) | instid1(VALU_DEP_3)
	v_sub_f32_e32 v21, v21, v25
	v_fma_mix_f32 v22, -v16, s16, -v20 op_sel_hi:[1,0,0]
	v_rndne_f32_e32 v23, v20
	s_delay_alu instid0(VALU_DEP_2) | instskip(NEXT) | instid1(VALU_DEP_2)
	v_fma_mix_f32 v22, -v16, s18, v22 op_sel_hi:[1,0,0]
	v_sub_f32_e32 v20, v20, v23
	v_fma_mix_f32 v16, -v16, s18, v24 op_sel:[1,0,0] op_sel_hi:[1,0,0]
	v_cvt_i32_f32_e32 v23, v23
	s_delay_alu instid0(VALU_DEP_3) | instskip(NEXT) | instid1(VALU_DEP_3)
	v_add_f32_e32 v20, v20, v22
	v_add_f32_e32 v16, v21, v16
	v_cvt_i32_f32_e32 v22, v25
	s_delay_alu instid0(VALU_DEP_3) | instskip(NEXT) | instid1(VALU_DEP_2)
	v_exp_f32_e32 v20, v20
	v_exp_f32_e32 v16, v16
	s_waitcnt_depctr 0xfff
	v_ldexp_f32 v20, v20, v23
	v_ldexp_f32 v16, v16, v22
	s_delay_alu instid0(VALU_DEP_2) | instskip(SKIP_1) | instid1(VALU_DEP_3)
	v_cndmask_b32_e32 v20, 0, v20, vcc_lo
	v_cmp_nlt_f32_e32 vcc_lo, 0x42b17218, v15
	v_cndmask_b32_e64 v15, 0, v16, s0
	s_delay_alu instid0(VALU_DEP_3) | instskip(SKIP_1) | instid1(VALU_DEP_2)
	v_cndmask_b32_e32 v16, 0x7f800000, v20, vcc_lo
	v_cmp_nlt_f32_e32 vcc_lo, 0x42b17218, v19
	v_dual_add_f32 v16, 1.0, v16 :: v_dual_cndmask_b32 v15, 0x7f800000, v15
	s_delay_alu instid0(VALU_DEP_1) | instskip(NEXT) | instid1(VALU_DEP_2)
	v_div_scale_f32 v19, null, v16, v16, v18
	v_add_f32_e32 v15, 1.0, v15
	v_div_scale_f32 v20, s0, v18, v16, v18
	s_delay_alu instid0(VALU_DEP_3) | instskip(NEXT) | instid1(VALU_DEP_2)
	v_rcp_f32_e32 v23, v19
	v_div_scale_f32 v21, null, v15, v15, v14
	v_div_scale_f32 v24, vcc_lo, v14, v15, v14
	s_delay_alu instid0(VALU_DEP_2) | instskip(SKIP_2) | instid1(VALU_DEP_1)
	v_rcp_f32_e32 v22, v21
	s_waitcnt_depctr 0xfff
	v_fma_f32 v25, -v19, v23, 1.0
	v_fmac_f32_e32 v23, v25, v23
	v_fma_f32 v26, -v21, v22, 1.0
	s_delay_alu instid0(VALU_DEP_2) | instskip(NEXT) | instid1(VALU_DEP_1)
	v_mul_f32_e32 v25, v20, v23
	v_fma_f32 v27, -v19, v25, v20
	s_delay_alu instid0(VALU_DEP_1) | instskip(NEXT) | instid1(VALU_DEP_1)
	v_dual_fmac_f32 v22, v26, v22 :: v_dual_fmac_f32 v25, v27, v23
	v_mul_f32_e32 v26, v24, v22
	s_delay_alu instid0(VALU_DEP_2) | instskip(NEXT) | instid1(VALU_DEP_2)
	v_fma_f32 v19, -v19, v25, v20
	v_fma_f32 v28, -v21, v26, v24
	s_delay_alu instid0(VALU_DEP_1) | instskip(NEXT) | instid1(VALU_DEP_1)
	v_fmac_f32_e32 v26, v28, v22
	v_fma_f32 v20, -v21, v26, v24
	s_delay_alu instid0(VALU_DEP_1) | instskip(SKIP_3) | instid1(VALU_DEP_3)
	v_div_fmas_f32 v20, v20, v22, v26
	s_mov_b32 vcc_lo, s0
	v_div_fmas_f32 v19, v19, v23, v25
	v_add_co_u32 v6, vcc_lo, v6, -2
	v_div_fixup_f32 v14, v20, v15, v14
	v_add_co_ci_u32_e32 v7, vcc_lo, -1, v7, vcc_lo
	s_delay_alu instid0(VALU_DEP_4) | instskip(NEXT) | instid1(VALU_DEP_3)
	v_div_fixup_f32 v15, v19, v16, v18
	v_cvt_f16_f32_e32 v14, v14
	s_delay_alu instid0(VALU_DEP_3) | instskip(NEXT) | instid1(VALU_DEP_3)
	v_cmp_eq_u64_e64 s0, 0, v[6:7]
	v_cvt_f16_f32_e32 v15, v15
	s_delay_alu instid0(VALU_DEP_1) | instskip(SKIP_3) | instid1(VALU_DEP_3)
	v_pack_b32_f16 v16, v15, v14
	v_add_co_u32 v14, vcc_lo, v12, s12
	v_add_co_ci_u32_e32 v15, vcc_lo, s13, v13, vcc_lo
	s_waitcnt vmcnt(0)
	v_pk_mul_f16 v16, v17, v16
	s_add_u32 s12, s12, s15
	s_addc_u32 s13, s13, 0
	s_or_b32 s17, s0, s17
	global_store_b32 v[14:15], v16, off
	s_and_not1_b32 exec_lo, exec_lo, s17
	s_cbranch_execnz .LBB9_7
; %bb.8:
	s_or_b32 exec_lo, exec_lo, s17
	v_mad_u64_u32 v[6:7], null, v4, s14, v[0:1]
	v_cmp_ne_u64_e32 vcc_lo, v[2:3], v[4:5]
	s_or_not1_b32 s0, vcc_lo, exec_lo
	s_delay_alu instid0(VALU_DEP_2) | instskip(NEXT) | instid1(VALU_DEP_1)
	v_mov_b32_e32 v0, v7
	v_mad_u64_u32 v[7:8], null, v5, s14, v[0:1]
	s_delay_alu instid0(VALU_DEP_1)
	v_dual_mov_b32 v0, v6 :: v_dual_mov_b32 v1, v7
.LBB9_9:
	s_or_b32 exec_lo, exec_lo, s1
	s_delay_alu instid0(SALU_CYCLE_1)
	s_and_b32 exec_lo, exec_lo, s0
	s_cbranch_execz .LBB9_12
; %bb.10:
	s_lshl_b64 s[10:11], s[10:11], 1
	v_lshlrev_b64 v[2:3], 1, v[0:1]
	s_waitcnt lgkmcnt(0)
	s_add_u32 s1, s6, s10
	s_addc_u32 s6, s7, s11
	s_lshl_b64 s[10:11], s[8:9], 1
	s_mov_b32 s12, 0x32a5705f
	s_add_u32 s7, s1, s10
	s_addc_u32 s10, s6, s11
	s_lshl_b64 s[2:3], s[2:3], 1
	s_mov_b32 s11, 0x3fb8aa3b
	s_add_u32 s2, s4, s2
	s_addc_u32 s3, s5, s3
	s_lshl_b32 s4, s14, 1
	s_mov_b32 s5, 0
.LBB9_11:                               ; =>This Inner Loop Header: Depth=1
	v_add_co_u32 v4, vcc_lo, s1, v2
	v_add_co_ci_u32_e32 v5, vcc_lo, s6, v3, vcc_lo
	global_load_u16 v6, v[4:5], off
	v_add_co_u32 v4, vcc_lo, s7, v2
	v_add_co_ci_u32_e32 v5, vcc_lo, s10, v3, vcc_lo
	global_load_u16 v7, v[4:5], off
	s_waitcnt vmcnt(1)
	v_cvt_f32_f16_e64 v4, -v6
	s_delay_alu instid0(VALU_DEP_1) | instskip(SKIP_1) | instid1(VALU_DEP_2)
	v_mul_f32_e32 v5, 0x3fb8aa3b, v4
	v_cmp_ngt_f32_e32 vcc_lo, 0xc2ce8ed0, v4
	v_fma_mix_f32 v8, -v6, s11, -v5 op_sel_hi:[1,0,0]
	v_rndne_f32_e32 v9, v5
	s_delay_alu instid0(VALU_DEP_2) | instskip(NEXT) | instid1(VALU_DEP_2)
	v_fma_mix_f32 v8, -v6, s12, v8 op_sel_hi:[1,0,0]
	v_sub_f32_e32 v5, v5, v9
	s_delay_alu instid0(VALU_DEP_1) | instskip(SKIP_1) | instid1(VALU_DEP_2)
	v_add_f32_e32 v5, v5, v8
	v_cvt_i32_f32_e32 v8, v9
	v_exp_f32_e32 v5, v5
	s_waitcnt_depctr 0xfff
	v_ldexp_f32 v5, v5, v8
	s_delay_alu instid0(VALU_DEP_1) | instskip(SKIP_1) | instid1(VALU_DEP_2)
	v_cndmask_b32_e32 v5, 0, v5, vcc_lo
	v_cmp_nlt_f32_e32 vcc_lo, 0x42b17218, v4
	v_cndmask_b32_e32 v4, 0x7f800000, v5, vcc_lo
	v_cvt_f32_f16_e32 v5, v6
	s_delay_alu instid0(VALU_DEP_2) | instskip(NEXT) | instid1(VALU_DEP_1)
	v_add_f32_e32 v4, 1.0, v4
	v_div_scale_f32 v6, null, v4, v4, v5
	v_div_scale_f32 v10, vcc_lo, v5, v4, v5
	s_delay_alu instid0(VALU_DEP_2) | instskip(SKIP_2) | instid1(VALU_DEP_1)
	v_rcp_f32_e32 v8, v6
	s_waitcnt_depctr 0xfff
	v_fma_f32 v9, -v6, v8, 1.0
	v_fmac_f32_e32 v8, v9, v8
	s_delay_alu instid0(VALU_DEP_1) | instskip(NEXT) | instid1(VALU_DEP_1)
	v_mul_f32_e32 v9, v10, v8
	v_fma_f32 v11, -v6, v9, v10
	s_delay_alu instid0(VALU_DEP_1) | instskip(NEXT) | instid1(VALU_DEP_1)
	v_fmac_f32_e32 v9, v11, v8
	v_fma_f32 v6, -v6, v9, v10
	s_delay_alu instid0(VALU_DEP_1) | instskip(SKIP_2) | instid1(VALU_DEP_3)
	v_div_fmas_f32 v6, v6, v8, v9
	v_add_co_u32 v0, vcc_lo, v0, s14
	v_add_co_ci_u32_e32 v1, vcc_lo, 0, v1, vcc_lo
	v_div_fixup_f32 v6, v6, v4, v5
	v_add_co_u32 v4, vcc_lo, s2, v2
	v_add_co_ci_u32_e32 v5, vcc_lo, s3, v3, vcc_lo
	s_delay_alu instid0(VALU_DEP_3) | instskip(SKIP_2) | instid1(VALU_DEP_1)
	v_cvt_f16_f32_e32 v6, v6
	v_cmp_le_i64_e32 vcc_lo, s[8:9], v[0:1]
	v_add_co_u32 v2, s0, v2, s4
	v_add_co_ci_u32_e64 v3, s0, 0, v3, s0
	s_waitcnt vmcnt(0)
	v_mul_f16_e32 v6, v7, v6
	s_or_b32 s5, vcc_lo, s5
	global_store_b16 v[4:5], v6, off
	s_and_not1_b32 exec_lo, exec_lo, s5
	s_cbranch_execnz .LBB9_11
.LBB9_12:
	s_nop 0
	s_sendmsg sendmsg(MSG_DEALLOC_VGPRS)
	s_endpgm
	.section	.rodata,"a",@progbits
	.p2align	6, 0x0
	.amdhsa_kernel _ZN4vllm18act_and_mul_kernelIN3c104HalfE7__half2TnPFT_RKS4_EXadL_ZNS_11silu_kernelIS2_EES4_S6_EETnPFT0_RKSA_EXadL_ZNS_18packed_silu_kernelIS3_EES4_S6_EELb1ELb0ELb0ELb0EEEvPS4_PS5_if
		.amdhsa_group_segment_fixed_size 0
		.amdhsa_private_segment_fixed_size 0
		.amdhsa_kernarg_size 280
		.amdhsa_user_sgpr_count 15
		.amdhsa_user_sgpr_dispatch_ptr 0
		.amdhsa_user_sgpr_queue_ptr 0
		.amdhsa_user_sgpr_kernarg_segment_ptr 1
		.amdhsa_user_sgpr_dispatch_id 0
		.amdhsa_user_sgpr_private_segment_size 0
		.amdhsa_wavefront_size32 1
		.amdhsa_uses_dynamic_stack 0
		.amdhsa_enable_private_segment 0
		.amdhsa_system_sgpr_workgroup_id_x 1
		.amdhsa_system_sgpr_workgroup_id_y 0
		.amdhsa_system_sgpr_workgroup_id_z 0
		.amdhsa_system_sgpr_workgroup_info 0
		.amdhsa_system_vgpr_workitem_id 0
		.amdhsa_next_free_vgpr 29
		.amdhsa_next_free_sgpr 19
		.amdhsa_reserve_vcc 1
		.amdhsa_float_round_mode_32 0
		.amdhsa_float_round_mode_16_64 0
		.amdhsa_float_denorm_mode_32 3
		.amdhsa_float_denorm_mode_16_64 3
		.amdhsa_dx10_clamp 1
		.amdhsa_ieee_mode 1
		.amdhsa_fp16_overflow 0
		.amdhsa_workgroup_processor_mode 1
		.amdhsa_memory_ordered 1
		.amdhsa_forward_progress 0
		.amdhsa_shared_vgpr_count 0
		.amdhsa_exception_fp_ieee_invalid_op 0
		.amdhsa_exception_fp_denorm_src 0
		.amdhsa_exception_fp_ieee_div_zero 0
		.amdhsa_exception_fp_ieee_overflow 0
		.amdhsa_exception_fp_ieee_underflow 0
		.amdhsa_exception_fp_ieee_inexact 0
		.amdhsa_exception_int_div_zero 0
	.end_amdhsa_kernel
	.section	.text._ZN4vllm18act_and_mul_kernelIN3c104HalfE7__half2TnPFT_RKS4_EXadL_ZNS_11silu_kernelIS2_EES4_S6_EETnPFT0_RKSA_EXadL_ZNS_18packed_silu_kernelIS3_EES4_S6_EELb1ELb0ELb0ELb0EEEvPS4_PS5_if,"axG",@progbits,_ZN4vllm18act_and_mul_kernelIN3c104HalfE7__half2TnPFT_RKS4_EXadL_ZNS_11silu_kernelIS2_EES4_S6_EETnPFT0_RKSA_EXadL_ZNS_18packed_silu_kernelIS3_EES4_S6_EELb1ELb0ELb0ELb0EEEvPS4_PS5_if,comdat
.Lfunc_end9:
	.size	_ZN4vllm18act_and_mul_kernelIN3c104HalfE7__half2TnPFT_RKS4_EXadL_ZNS_11silu_kernelIS2_EES4_S6_EETnPFT0_RKSA_EXadL_ZNS_18packed_silu_kernelIS3_EES4_S6_EELb1ELb0ELb0ELb0EEEvPS4_PS5_if, .Lfunc_end9-_ZN4vllm18act_and_mul_kernelIN3c104HalfE7__half2TnPFT_RKS4_EXadL_ZNS_11silu_kernelIS2_EES4_S6_EETnPFT0_RKSA_EXadL_ZNS_18packed_silu_kernelIS3_EES4_S6_EELb1ELb0ELb0ELb0EEEvPS4_PS5_if
                                        ; -- End function
	.section	.AMDGPU.csdata,"",@progbits
; Kernel info:
; codeLenInByte = 2248
; NumSgprs: 21
; NumVgprs: 29
; ScratchSize: 0
; MemoryBound: 0
; FloatMode: 240
; IeeeMode: 1
; LDSByteSize: 0 bytes/workgroup (compile time only)
; SGPRBlocks: 2
; VGPRBlocks: 3
; NumSGPRsForWavesPerEU: 21
; NumVGPRsForWavesPerEU: 29
; Occupancy: 16
; WaveLimiterHint : 0
; COMPUTE_PGM_RSRC2:SCRATCH_EN: 0
; COMPUTE_PGM_RSRC2:USER_SGPR: 15
; COMPUTE_PGM_RSRC2:TRAP_HANDLER: 0
; COMPUTE_PGM_RSRC2:TGID_X_EN: 1
; COMPUTE_PGM_RSRC2:TGID_Y_EN: 0
; COMPUTE_PGM_RSRC2:TGID_Z_EN: 0
; COMPUTE_PGM_RSRC2:TIDIG_COMP_CNT: 0
	.section	.text._ZN4vllm18act_and_mul_kernelIN3c108BFloat16E15__hip_bfloat162TnPFT_RKS4_EXadL_ZNS_11silu_kernelIS2_EES4_S6_EETnPFT0_RKSA_EXadL_ZNS_18packed_silu_kernelIS3_EES4_S6_EELb1ELb0ELb0ELb0EEEvPS4_PS5_if,"axG",@progbits,_ZN4vllm18act_and_mul_kernelIN3c108BFloat16E15__hip_bfloat162TnPFT_RKS4_EXadL_ZNS_11silu_kernelIS2_EES4_S6_EETnPFT0_RKSA_EXadL_ZNS_18packed_silu_kernelIS3_EES4_S6_EELb1ELb0ELb0ELb0EEEvPS4_PS5_if,comdat
	.protected	_ZN4vllm18act_and_mul_kernelIN3c108BFloat16E15__hip_bfloat162TnPFT_RKS4_EXadL_ZNS_11silu_kernelIS2_EES4_S6_EETnPFT0_RKSA_EXadL_ZNS_18packed_silu_kernelIS3_EES4_S6_EELb1ELb0ELb0ELb0EEEvPS4_PS5_if ; -- Begin function _ZN4vllm18act_and_mul_kernelIN3c108BFloat16E15__hip_bfloat162TnPFT_RKS4_EXadL_ZNS_11silu_kernelIS2_EES4_S6_EETnPFT0_RKSA_EXadL_ZNS_18packed_silu_kernelIS3_EES4_S6_EELb1ELb0ELb0ELb0EEEvPS4_PS5_if
	.globl	_ZN4vllm18act_and_mul_kernelIN3c108BFloat16E15__hip_bfloat162TnPFT_RKS4_EXadL_ZNS_11silu_kernelIS2_EES4_S6_EETnPFT0_RKSA_EXadL_ZNS_18packed_silu_kernelIS3_EES4_S6_EELb1ELb0ELb0ELb0EEEvPS4_PS5_if
	.p2align	8
	.type	_ZN4vllm18act_and_mul_kernelIN3c108BFloat16E15__hip_bfloat162TnPFT_RKS4_EXadL_ZNS_11silu_kernelIS2_EES4_S6_EETnPFT0_RKSA_EXadL_ZNS_18packed_silu_kernelIS3_EES4_S6_EELb1ELb0ELb0ELb0EEEvPS4_PS5_if,@function
_ZN4vllm18act_and_mul_kernelIN3c108BFloat16E15__hip_bfloat162TnPFT_RKS4_EXadL_ZNS_11silu_kernelIS2_EES4_S6_EETnPFT0_RKSA_EXadL_ZNS_18packed_silu_kernelIS3_EES4_S6_EELb1ELb0ELb0ELb0EEEvPS4_PS5_if: ; @_ZN4vllm18act_and_mul_kernelIN3c108BFloat16E15__hip_bfloat162TnPFT_RKS4_EXadL_ZNS_11silu_kernelIS2_EES4_S6_EETnPFT0_RKSA_EXadL_ZNS_18packed_silu_kernelIS3_EES4_S6_EELb1ELb0ELb0ELb0EEEvPS4_PS5_if
; %bb.0:
	s_load_b32 s8, s[0:1], 0x10
	s_mov_b32 s2, exec_lo
	s_waitcnt lgkmcnt(0)
	v_cmpx_gt_i32_e64 s8, v0
	s_cbranch_execz .LBB10_12
; %bb.1:
	s_load_b32 s2, s[0:1], 0x24
	s_ashr_i32 s9, s8, 31
	s_waitcnt lgkmcnt(0)
	s_and_b32 s14, s2, 0xffff
	s_delay_alu instid0(SALU_CYCLE_1) | instskip(NEXT) | instid1(VALU_DEP_1)
	v_add_co_u32 v1, s2, v0, s14
	v_add_co_ci_u32_e64 v2, null, 0, 0, s2
	s_delay_alu instid0(VALU_DEP_1) | instskip(SKIP_1) | instid1(VALU_DEP_2)
	v_cmp_gt_i64_e64 s2, s[8:9], v[1:2]
	v_cmp_lt_i64_e32 vcc_lo, s[8:9], v[1:2]
	v_cndmask_b32_e64 v6, 0, 1, s2
	v_cndmask_b32_e32 v3, s9, v2, vcc_lo
	v_cndmask_b32_e32 v4, s8, v1, vcc_lo
	s_mov_b32 s2, exec_lo
	s_delay_alu instid0(VALU_DEP_3) | instskip(SKIP_2) | instid1(VALU_DEP_3)
	v_add_co_u32 v5, vcc_lo, v1, v6
	v_mov_b32_e32 v1, 0
	v_add_co_ci_u32_e32 v2, vcc_lo, 0, v2, vcc_lo
	v_sub_co_u32 v7, vcc_lo, v4, v5
                                        ; implicit-def: $vgpr4_vgpr5
	s_delay_alu instid0(VALU_DEP_2) | instskip(NEXT) | instid1(VALU_DEP_4)
	v_sub_co_ci_u32_e32 v3, vcc_lo, v3, v2, vcc_lo
	v_mov_b32_e32 v2, v1
	s_delay_alu instid0(VALU_DEP_1)
	v_cmpx_ne_u64_e32 0, v[2:3]
	s_xor_b32 s3, exec_lo, s2
	s_cbranch_execz .LBB10_3
; %bb.2:
	v_cvt_f32_u32_e32 v2, s14
	s_sub_u32 s2, 0, s14
	s_subb_u32 s4, 0, 0
	s_delay_alu instid0(VALU_DEP_1) | instskip(NEXT) | instid1(VALU_DEP_1)
	v_fmamk_f32 v2, 0, 0x4f800000, v2
	v_rcp_f32_e32 v2, v2
	s_waitcnt_depctr 0xfff
	v_mul_f32_e32 v2, 0x5f7ffffc, v2
	s_delay_alu instid0(VALU_DEP_1) | instskip(NEXT) | instid1(VALU_DEP_1)
	v_mul_f32_e32 v4, 0x2f800000, v2
	v_trunc_f32_e32 v4, v4
	s_delay_alu instid0(VALU_DEP_1) | instskip(SKIP_1) | instid1(VALU_DEP_2)
	v_fmamk_f32 v2, v4, 0xcf800000, v2
	v_cvt_u32_f32_e32 v4, v4
	v_cvt_u32_f32_e32 v2, v2
	s_delay_alu instid0(VALU_DEP_2) | instskip(NEXT) | instid1(VALU_DEP_2)
	v_mul_lo_u32 v5, s2, v4
	v_mul_hi_u32 v8, s2, v2
	v_mul_lo_u32 v9, s4, v2
	s_delay_alu instid0(VALU_DEP_2) | instskip(SKIP_1) | instid1(VALU_DEP_2)
	v_add_nc_u32_e32 v5, v8, v5
	v_mul_lo_u32 v8, s2, v2
	v_add_nc_u32_e32 v5, v5, v9
	s_delay_alu instid0(VALU_DEP_2) | instskip(NEXT) | instid1(VALU_DEP_2)
	v_mul_hi_u32 v9, v2, v8
	v_mul_lo_u32 v10, v2, v5
	v_mul_hi_u32 v11, v2, v5
	v_mul_hi_u32 v12, v4, v8
	v_mul_lo_u32 v8, v4, v8
	v_mul_hi_u32 v13, v4, v5
	v_mul_lo_u32 v5, v4, v5
	v_add_co_u32 v9, vcc_lo, v9, v10
	v_add_co_ci_u32_e32 v10, vcc_lo, 0, v11, vcc_lo
	s_delay_alu instid0(VALU_DEP_2) | instskip(NEXT) | instid1(VALU_DEP_2)
	v_add_co_u32 v8, vcc_lo, v9, v8
	v_add_co_ci_u32_e32 v8, vcc_lo, v10, v12, vcc_lo
	v_add_co_ci_u32_e32 v9, vcc_lo, 0, v13, vcc_lo
	s_delay_alu instid0(VALU_DEP_2) | instskip(NEXT) | instid1(VALU_DEP_2)
	v_add_co_u32 v5, vcc_lo, v8, v5
	v_add_co_ci_u32_e32 v8, vcc_lo, 0, v9, vcc_lo
	s_delay_alu instid0(VALU_DEP_2) | instskip(NEXT) | instid1(VALU_DEP_2)
	v_add_co_u32 v2, vcc_lo, v2, v5
	v_add_co_ci_u32_e32 v4, vcc_lo, v4, v8, vcc_lo
	s_delay_alu instid0(VALU_DEP_2) | instskip(SKIP_1) | instid1(VALU_DEP_3)
	v_mul_hi_u32 v5, s2, v2
	v_mul_lo_u32 v9, s4, v2
	v_mul_lo_u32 v8, s2, v4
	s_delay_alu instid0(VALU_DEP_1) | instskip(SKIP_1) | instid1(VALU_DEP_2)
	v_add_nc_u32_e32 v5, v5, v8
	v_mul_lo_u32 v8, s2, v2
	v_add_nc_u32_e32 v5, v5, v9
	s_delay_alu instid0(VALU_DEP_2) | instskip(NEXT) | instid1(VALU_DEP_2)
	v_mul_hi_u32 v9, v2, v8
	v_mul_lo_u32 v10, v2, v5
	v_mul_hi_u32 v11, v2, v5
	v_mul_hi_u32 v12, v4, v8
	v_mul_lo_u32 v8, v4, v8
	v_mul_hi_u32 v13, v4, v5
	v_mul_lo_u32 v5, v4, v5
	v_add_co_u32 v9, vcc_lo, v9, v10
	v_add_co_ci_u32_e32 v10, vcc_lo, 0, v11, vcc_lo
	s_delay_alu instid0(VALU_DEP_2) | instskip(NEXT) | instid1(VALU_DEP_2)
	v_add_co_u32 v8, vcc_lo, v9, v8
	v_add_co_ci_u32_e32 v8, vcc_lo, v10, v12, vcc_lo
	v_add_co_ci_u32_e32 v9, vcc_lo, 0, v13, vcc_lo
	s_delay_alu instid0(VALU_DEP_2) | instskip(NEXT) | instid1(VALU_DEP_2)
	v_add_co_u32 v5, vcc_lo, v8, v5
	v_add_co_ci_u32_e32 v8, vcc_lo, 0, v9, vcc_lo
	s_delay_alu instid0(VALU_DEP_2) | instskip(NEXT) | instid1(VALU_DEP_2)
	v_add_co_u32 v2, vcc_lo, v2, v5
	v_add_co_ci_u32_e32 v12, vcc_lo, v4, v8, vcc_lo
	s_delay_alu instid0(VALU_DEP_2) | instskip(SKIP_1) | instid1(VALU_DEP_3)
	v_mul_hi_u32 v13, v7, v2
	v_mad_u64_u32 v[8:9], null, v3, v2, 0
	v_mad_u64_u32 v[4:5], null, v7, v12, 0
	;; [unrolled: 1-line block ×3, first 2 shown]
	s_delay_alu instid0(VALU_DEP_2) | instskip(NEXT) | instid1(VALU_DEP_3)
	v_add_co_u32 v2, vcc_lo, v13, v4
	v_add_co_ci_u32_e32 v4, vcc_lo, 0, v5, vcc_lo
	s_delay_alu instid0(VALU_DEP_2) | instskip(NEXT) | instid1(VALU_DEP_2)
	v_add_co_u32 v2, vcc_lo, v2, v8
	v_add_co_ci_u32_e32 v2, vcc_lo, v4, v9, vcc_lo
	v_add_co_ci_u32_e32 v4, vcc_lo, 0, v11, vcc_lo
	s_delay_alu instid0(VALU_DEP_2) | instskip(NEXT) | instid1(VALU_DEP_2)
	v_add_co_u32 v10, vcc_lo, v2, v10
	v_add_co_ci_u32_e32 v11, vcc_lo, 0, v4, vcc_lo
	s_delay_alu instid0(VALU_DEP_2) | instskip(NEXT) | instid1(VALU_DEP_1)
	v_mad_u64_u32 v[4:5], null, s14, v10, 0
	v_mov_b32_e32 v2, v5
	s_delay_alu instid0(VALU_DEP_1) | instskip(NEXT) | instid1(VALU_DEP_3)
	v_mad_u64_u32 v[8:9], null, s14, v11, v[2:3]
	v_sub_co_u32 v2, vcc_lo, v7, v4
	s_delay_alu instid0(VALU_DEP_2) | instskip(NEXT) | instid1(VALU_DEP_2)
	v_sub_co_ci_u32_e32 v3, vcc_lo, v3, v8, vcc_lo
	v_sub_co_u32 v4, vcc_lo, v2, s14
	s_delay_alu instid0(VALU_DEP_2) | instskip(NEXT) | instid1(VALU_DEP_2)
	v_subrev_co_ci_u32_e32 v5, vcc_lo, 0, v3, vcc_lo
	v_cmp_le_u32_e32 vcc_lo, s14, v4
	v_cmp_eq_u32_e64 s2, 0, v3
	v_cndmask_b32_e64 v4, 0, -1, vcc_lo
	v_add_co_u32 v7, vcc_lo, v10, 2
	v_add_co_ci_u32_e32 v8, vcc_lo, 0, v11, vcc_lo
	v_cmp_le_u32_e32 vcc_lo, s14, v2
	v_cndmask_b32_e64 v2, 0, -1, vcc_lo
	v_cmp_eq_u32_e32 vcc_lo, 0, v5
	s_delay_alu instid0(VALU_DEP_2) | instskip(SKIP_3) | instid1(VALU_DEP_3)
	v_cndmask_b32_e64 v2, -1, v2, s2
	v_cndmask_b32_e32 v4, -1, v4, vcc_lo
	v_add_co_u32 v5, vcc_lo, v10, 1
	v_add_co_ci_u32_e32 v9, vcc_lo, 0, v11, vcc_lo
	v_cmp_ne_u32_e32 vcc_lo, 0, v4
	s_delay_alu instid0(VALU_DEP_2) | instskip(NEXT) | instid1(VALU_DEP_4)
	v_cndmask_b32_e32 v3, v9, v8, vcc_lo
	v_cndmask_b32_e32 v4, v5, v7, vcc_lo
	v_cmp_ne_u32_e32 vcc_lo, 0, v2
                                        ; implicit-def: $vgpr7
	s_delay_alu instid0(VALU_DEP_2)
	v_dual_cndmask_b32 v5, v11, v3 :: v_dual_cndmask_b32 v4, v10, v4
.LBB10_3:
	s_or_saveexec_b32 s2, s3
	s_load_b128 s[4:7], s[0:1], 0x0
	s_xor_b32 exec_lo, exec_lo, s2
	s_cbranch_execz .LBB10_5
; %bb.4:
	v_cvt_f32_u32_e32 v2, s14
	s_sub_i32 s0, 0, s14
	s_delay_alu instid0(VALU_DEP_1) | instskip(SKIP_2) | instid1(VALU_DEP_1)
	v_rcp_iflag_f32_e32 v2, v2
	s_waitcnt_depctr 0xfff
	v_mul_f32_e32 v2, 0x4f7ffffe, v2
	v_cvt_u32_f32_e32 v2, v2
	s_delay_alu instid0(VALU_DEP_1) | instskip(NEXT) | instid1(VALU_DEP_1)
	v_mul_lo_u32 v3, s0, v2
	v_mul_hi_u32 v3, v2, v3
	s_delay_alu instid0(VALU_DEP_1) | instskip(NEXT) | instid1(VALU_DEP_1)
	v_add_nc_u32_e32 v2, v2, v3
	v_mul_hi_u32 v2, v7, v2
	s_delay_alu instid0(VALU_DEP_1) | instskip(SKIP_1) | instid1(VALU_DEP_2)
	v_mul_lo_u32 v3, v2, s14
	v_add_nc_u32_e32 v4, 1, v2
	v_sub_nc_u32_e32 v3, v7, v3
	s_delay_alu instid0(VALU_DEP_1) | instskip(SKIP_1) | instid1(VALU_DEP_2)
	v_subrev_nc_u32_e32 v5, s14, v3
	v_cmp_le_u32_e32 vcc_lo, s14, v3
	v_cndmask_b32_e32 v3, v3, v5, vcc_lo
	v_dual_mov_b32 v5, 0 :: v_dual_cndmask_b32 v2, v2, v4
	s_delay_alu instid0(VALU_DEP_2) | instskip(NEXT) | instid1(VALU_DEP_2)
	v_cmp_le_u32_e32 vcc_lo, s14, v3
	v_add_nc_u32_e32 v4, 1, v2
	s_delay_alu instid0(VALU_DEP_1)
	v_cndmask_b32_e32 v4, v2, v4, vcc_lo
.LBB10_5:
	s_or_b32 exec_lo, exec_lo, s2
	s_delay_alu instid0(VALU_DEP_1) | instskip(SKIP_2) | instid1(VALU_DEP_3)
	v_add_co_u32 v2, vcc_lo, v4, v6
	v_add_co_ci_u32_e32 v3, vcc_lo, 0, v5, vcc_lo
	v_cmp_eq_u16_e64 s0, s14, 1
	v_add_co_u32 v2, vcc_lo, v2, 1
	s_delay_alu instid0(VALU_DEP_3) | instskip(SKIP_3) | instid1(VALU_DEP_1)
	v_add_co_ci_u32_e32 v3, vcc_lo, 0, v3, vcc_lo
	s_mul_i32 s2, s15, s8
	s_mov_b32 s11, 0
	s_lshl_b32 s10, s2, 1
	v_cmp_lt_u64_e32 vcc_lo, 1, v[2:3]
	s_mov_b32 s3, s11
	s_and_b32 s12, vcc_lo, s0
	s_mov_b32 s0, -1
	s_and_saveexec_b32 s1, s12
	s_cbranch_execz .LBB10_9
; %bb.6:
	v_lshlrev_b32_e32 v6, 1, v0
	s_lshl_b64 s[12:13], s[10:11], 1
	v_dual_mov_b32 v5, v3 :: v_dual_and_b32 v4, -2, v2
	s_waitcnt lgkmcnt(0)
	s_add_u32 s0, s6, s12
	s_addc_u32 s12, s7, s13
	v_add_co_u32 v8, s0, s0, v6
	s_lshl_b64 s[16:17], s[2:3], 1
	v_add_co_ci_u32_e64 v9, null, s12, 0, s0
	s_lshl_b32 s15, s14, 2
	s_lshl_b64 s[12:13], s[8:9], 1
	s_add_u32 s0, s4, s16
	v_add_co_u32 v10, vcc_lo, v8, s12
	s_addc_u32 s12, s5, s17
	v_add_co_u32 v12, s0, s0, v6
	v_add_co_ci_u32_e32 v11, vcc_lo, s13, v9, vcc_lo
	v_add_co_ci_u32_e64 v13, null, s12, 0, s0
	v_dual_mov_b32 v7, v5 :: v_dual_mov_b32 v6, v4
	s_mov_b64 s[12:13], 0
	s_mov_b32 s16, s11
.LBB10_7:                               ; =>This Inner Loop Header: Depth=1
	v_add_co_u32 v14, vcc_lo, v8, s12
	v_add_co_ci_u32_e32 v15, vcc_lo, s13, v9, vcc_lo
	global_load_b32 v16, v[14:15], off
	v_add_co_u32 v14, vcc_lo, v10, s12
	v_add_co_ci_u32_e32 v15, vcc_lo, s13, v11, vcc_lo
	global_load_b32 v14, v[14:15], off
	s_waitcnt vmcnt(1)
	v_and_b32_e32 v15, 0xffff0000, v16
	v_lshlrev_b32_e32 v16, 16, v16
	s_delay_alu instid0(VALU_DEP_1) | instskip(SKIP_1) | instid1(VALU_DEP_2)
	v_xor_b32_e32 v18, 0x80000000, v16
	v_cmp_o_f32_e32 vcc_lo, v16, v16
	v_bfe_u32 v20, v18, 16, 1
	s_delay_alu instid0(VALU_DEP_1) | instskip(NEXT) | instid1(VALU_DEP_1)
	v_add3_u32 v18, v18, v20, 0x7fff
	v_and_b32_e32 v18, 0xffff0000, v18
	s_delay_alu instid0(VALU_DEP_1) | instskip(NEXT) | instid1(VALU_DEP_1)
	v_cndmask_b32_e32 v18, 0x7fc00000, v18, vcc_lo
	v_mul_f32_e32 v20, 0x3fb8aa3b, v18
	v_cmp_ngt_f32_e32 vcc_lo, 0xc2ce8ed0, v18
	s_delay_alu instid0(VALU_DEP_2) | instskip(SKIP_1) | instid1(VALU_DEP_1)
	v_fma_f32 v23, 0x3fb8aa3b, v18, -v20
	v_rndne_f32_e32 v24, v20
	v_dual_fmac_f32 v23, 0x32a5705f, v18 :: v_dual_sub_f32 v20, v20, v24
	s_delay_alu instid0(VALU_DEP_1) | instskip(SKIP_2) | instid1(VALU_DEP_3)
	v_add_f32_e32 v20, v20, v23
	v_xor_b32_e32 v17, 0x80000000, v15
	v_cmp_o_f32_e64 s0, v15, v15
	v_exp_f32_e32 v20, v20
	s_delay_alu instid0(VALU_DEP_2) | instskip(NEXT) | instid1(VALU_DEP_1)
	v_bfe_u32 v19, v17, 16, 1
	v_add3_u32 v17, v17, v19, 0x7fff
	s_delay_alu instid0(VALU_DEP_1) | instskip(NEXT) | instid1(VALU_DEP_1)
	v_and_b32_e32 v17, 0xffff0000, v17
	v_cndmask_b32_e64 v17, 0x7fc00000, v17, s0
	s_delay_alu instid0(VALU_DEP_1) | instskip(SKIP_1) | instid1(VALU_DEP_2)
	v_mul_f32_e32 v19, 0x3fb8aa3b, v17
	v_cmp_ngt_f32_e64 s0, 0xc2ce8ed0, v17
	v_fma_f32 v21, 0x3fb8aa3b, v17, -v19
	v_rndne_f32_e32 v22, v19
	s_delay_alu instid0(VALU_DEP_2) | instskip(NEXT) | instid1(VALU_DEP_2)
	v_fmac_f32_e32 v21, 0x32a5705f, v17
	v_sub_f32_e32 v19, v19, v22
	s_delay_alu instid0(VALU_DEP_1) | instskip(SKIP_2) | instid1(VALU_DEP_3)
	v_add_f32_e32 v19, v19, v21
	v_cvt_i32_f32_e32 v21, v22
	v_cvt_i32_f32_e32 v22, v24
	v_exp_f32_e32 v19, v19
	s_delay_alu instid0(VALU_DEP_1) | instskip(NEXT) | instid1(VALU_DEP_1)
	v_ldexp_f32 v20, v20, v22
	v_cndmask_b32_e32 v20, 0, v20, vcc_lo
	s_waitcnt_depctr 0xfff
	v_ldexp_f32 v19, v19, v21
	s_delay_alu instid0(VALU_DEP_1) | instskip(SKIP_1) | instid1(VALU_DEP_1)
	v_cndmask_b32_e64 v19, 0, v19, s0
	v_cmp_nlt_f32_e64 s0, 0x42b17218, v17
	v_cndmask_b32_e64 v17, 0x7f800000, v19, s0
	s_delay_alu instid0(VALU_DEP_1) | instskip(SKIP_1) | instid1(VALU_DEP_2)
	v_add_f32_e32 v17, 1.0, v17
	v_cmp_nlt_f32_e32 vcc_lo, 0x42b17218, v18
	v_div_scale_f32 v19, null, v17, v17, v15
	v_cndmask_b32_e32 v18, 0x7f800000, v20, vcc_lo
	v_div_scale_f32 v23, vcc_lo, v15, v17, v15
	s_delay_alu instid0(VALU_DEP_3) | instskip(NEXT) | instid1(VALU_DEP_2)
	v_rcp_f32_e32 v21, v19
	v_add_f32_e32 v18, 1.0, v18
	s_delay_alu instid0(VALU_DEP_1) | instskip(SKIP_4) | instid1(VALU_DEP_1)
	v_div_scale_f32 v20, null, v18, v18, v16
	v_div_scale_f32 v24, s0, v16, v18, v16
	s_waitcnt_depctr 0xfff
	v_fma_f32 v25, -v19, v21, 1.0
	v_rcp_f32_e32 v22, v20
	v_fmac_f32_e32 v21, v25, v21
	s_delay_alu instid0(VALU_DEP_1) | instskip(SKIP_3) | instid1(VALU_DEP_1)
	v_mul_f32_e32 v25, v23, v21
	s_waitcnt_depctr 0xfff
	v_fma_f32 v26, -v20, v22, 1.0
	v_fma_f32 v27, -v19, v25, v23
	v_dual_fmac_f32 v22, v26, v22 :: v_dual_fmac_f32 v25, v27, v21
	s_delay_alu instid0(VALU_DEP_1) | instskip(NEXT) | instid1(VALU_DEP_2)
	v_mul_f32_e32 v26, v24, v22
	v_fma_f32 v19, -v19, v25, v23
	s_delay_alu instid0(VALU_DEP_2) | instskip(NEXT) | instid1(VALU_DEP_2)
	v_fma_f32 v28, -v20, v26, v24
	v_div_fmas_f32 v19, v19, v21, v25
	s_mov_b32 vcc_lo, s0
	s_delay_alu instid0(VALU_DEP_1) | instskip(SKIP_2) | instid1(VALU_DEP_2)
	v_div_fixup_f32 v15, v19, v17, v15
	s_waitcnt vmcnt(0)
	v_and_b32_e32 v19, 0xffff0000, v14
	v_bfe_u32 v17, v15, 16, 1
	s_delay_alu instid0(VALU_DEP_1) | instskip(NEXT) | instid1(VALU_DEP_1)
	v_add3_u32 v17, v15, v17, 0x7fff
	v_dual_fmac_f32 v26, v28, v22 :: v_dual_and_b32 v17, 0xffff0000, v17
	s_delay_alu instid0(VALU_DEP_1) | instskip(NEXT) | instid1(VALU_DEP_1)
	v_fma_f32 v20, -v20, v26, v24
	v_div_fmas_f32 v20, v20, v22, v26
	v_cmp_o_f32_e32 vcc_lo, v15, v15
	v_lshlrev_b32_e32 v14, 16, v14
	s_delay_alu instid0(VALU_DEP_3) | instskip(SKIP_3) | instid1(VALU_DEP_4)
	v_div_fixup_f32 v16, v20, v18, v16
	v_cndmask_b32_e32 v15, 0x7fc00000, v17, vcc_lo
	v_add_co_u32 v6, vcc_lo, v6, -2
	v_add_co_ci_u32_e32 v7, vcc_lo, -1, v7, vcc_lo
	v_bfe_u32 v18, v16, 16, 1
	v_cmp_o_f32_e64 s0, v16, v16
	v_mul_f32_e32 v15, v15, v19
	s_delay_alu instid0(VALU_DEP_3) | instskip(NEXT) | instid1(VALU_DEP_2)
	v_add3_u32 v18, v16, v18, 0x7fff
	v_cmp_o_f32_e32 vcc_lo, v15, v15
	s_delay_alu instid0(VALU_DEP_2) | instskip(NEXT) | instid1(VALU_DEP_1)
	v_and_b32_e32 v18, 0xffff0000, v18
	v_cndmask_b32_e64 v16, 0x7fc00000, v18, s0
	s_delay_alu instid0(VALU_DEP_1) | instskip(SKIP_1) | instid1(VALU_DEP_2)
	v_mul_f32_e32 v14, v16, v14
	v_bfe_u32 v16, v15, 16, 1
	v_bfe_u32 v17, v14, 16, 1
	s_delay_alu instid0(VALU_DEP_2) | instskip(SKIP_1) | instid1(VALU_DEP_3)
	v_add3_u32 v16, v15, v16, 0x7fff
	v_cmp_o_f32_e64 s0, v14, v14
	v_add3_u32 v17, v14, v17, 0x7fff
	s_delay_alu instid0(VALU_DEP_3) | instskip(NEXT) | instid1(VALU_DEP_2)
	v_lshrrev_b32_e32 v16, 16, v16
	v_lshrrev_b32_e32 v17, 16, v17
	s_delay_alu instid0(VALU_DEP_2) | instskip(SKIP_2) | instid1(VALU_DEP_4)
	v_cndmask_b32_e32 v16, 0x7fc0, v16, vcc_lo
	v_add_co_u32 v14, vcc_lo, v12, s12
	v_add_co_ci_u32_e32 v15, vcc_lo, s13, v13, vcc_lo
	v_cndmask_b32_e64 v17, 0x7fc0, v17, s0
	v_cmp_eq_u64_e64 s0, 0, v[6:7]
	s_add_u32 s12, s12, s15
	s_addc_u32 s13, s13, 0
	s_delay_alu instid0(VALU_DEP_2) | instskip(NEXT) | instid1(VALU_DEP_2)
	v_perm_b32 v16, v16, v17, 0x5040100
	s_or_b32 s16, s0, s16
	global_store_b32 v[14:15], v16, off
	s_and_not1_b32 exec_lo, exec_lo, s16
	s_cbranch_execnz .LBB10_7
; %bb.8:
	s_or_b32 exec_lo, exec_lo, s16
	v_mad_u64_u32 v[6:7], null, v4, s14, v[0:1]
	v_cmp_ne_u64_e32 vcc_lo, v[2:3], v[4:5]
	s_or_not1_b32 s0, vcc_lo, exec_lo
	s_delay_alu instid0(VALU_DEP_2) | instskip(NEXT) | instid1(VALU_DEP_1)
	v_mov_b32_e32 v0, v7
	v_mad_u64_u32 v[7:8], null, v5, s14, v[0:1]
	s_delay_alu instid0(VALU_DEP_1)
	v_dual_mov_b32 v0, v6 :: v_dual_mov_b32 v1, v7
.LBB10_9:
	s_or_b32 exec_lo, exec_lo, s1
	s_delay_alu instid0(SALU_CYCLE_1)
	s_and_b32 exec_lo, exec_lo, s0
	s_cbranch_execz .LBB10_12
; %bb.10:
	s_lshl_b64 s[0:1], s[10:11], 1
	v_lshlrev_b64 v[2:3], 1, v[0:1]
	s_waitcnt lgkmcnt(0)
	s_add_u32 s6, s6, s0
	s_addc_u32 s7, s7, s1
	s_lshl_b64 s[0:1], s[8:9], 1
	s_delay_alu instid0(SALU_CYCLE_1) | instskip(SKIP_2) | instid1(SALU_CYCLE_1)
	s_add_u32 s10, s6, s0
	s_addc_u32 s11, s7, s1
	s_lshl_b64 s[0:1], s[2:3], 1
	s_add_u32 s2, s4, s0
	s_addc_u32 s3, s5, s1
	s_lshl_b32 s4, s14, 1
	s_mov_b32 s5, 0
.LBB10_11:                              ; =>This Inner Loop Header: Depth=1
	v_add_co_u32 v4, vcc_lo, s6, v2
	v_add_co_ci_u32_e32 v5, vcc_lo, s7, v3, vcc_lo
	global_load_u16 v6, v[4:5], off
	v_add_co_u32 v4, vcc_lo, s10, v2
	v_add_co_ci_u32_e32 v5, vcc_lo, s11, v3, vcc_lo
	global_load_u16 v4, v[4:5], off
	s_waitcnt vmcnt(1)
	v_lshlrev_b32_e32 v5, 16, v6
	s_delay_alu instid0(VALU_DEP_1) | instskip(SKIP_1) | instid1(VALU_DEP_2)
	v_xor_b32_e32 v6, 0x80000000, v5
	v_cmp_o_f32_e32 vcc_lo, v5, v5
	v_bfe_u32 v7, v6, 16, 1
	s_delay_alu instid0(VALU_DEP_1) | instskip(NEXT) | instid1(VALU_DEP_1)
	v_add3_u32 v6, v6, v7, 0x7fff
	v_and_b32_e32 v6, 0xffff0000, v6
	s_delay_alu instid0(VALU_DEP_1) | instskip(NEXT) | instid1(VALU_DEP_1)
	v_cndmask_b32_e32 v6, 0x7fc00000, v6, vcc_lo
	v_mul_f32_e32 v7, 0x3fb8aa3b, v6
	s_delay_alu instid0(VALU_DEP_1) | instskip(SKIP_1) | instid1(VALU_DEP_1)
	v_fma_f32 v8, 0x3fb8aa3b, v6, -v7
	v_rndne_f32_e32 v9, v7
	v_dual_fmac_f32 v8, 0x32a5705f, v6 :: v_dual_sub_f32 v7, v7, v9
	s_delay_alu instid0(VALU_DEP_1) | instskip(SKIP_2) | instid1(VALU_DEP_3)
	v_add_f32_e32 v7, v7, v8
	v_cvt_i32_f32_e32 v8, v9
	v_cmp_ngt_f32_e32 vcc_lo, 0xc2ce8ed0, v6
	v_exp_f32_e32 v7, v7
	s_waitcnt_depctr 0xfff
	v_ldexp_f32 v7, v7, v8
	s_delay_alu instid0(VALU_DEP_1) | instskip(SKIP_1) | instid1(VALU_DEP_2)
	v_cndmask_b32_e32 v7, 0, v7, vcc_lo
	v_cmp_nlt_f32_e32 vcc_lo, 0x42b17218, v6
	v_cndmask_b32_e32 v6, 0x7f800000, v7, vcc_lo
	s_delay_alu instid0(VALU_DEP_1) | instskip(NEXT) | instid1(VALU_DEP_1)
	v_add_f32_e32 v6, 1.0, v6
	v_div_scale_f32 v7, null, v6, v6, v5
	v_div_scale_f32 v10, vcc_lo, v5, v6, v5
	s_delay_alu instid0(VALU_DEP_2) | instskip(SKIP_2) | instid1(VALU_DEP_1)
	v_rcp_f32_e32 v8, v7
	s_waitcnt_depctr 0xfff
	v_fma_f32 v9, -v7, v8, 1.0
	v_fmac_f32_e32 v8, v9, v8
	s_delay_alu instid0(VALU_DEP_1) | instskip(NEXT) | instid1(VALU_DEP_1)
	v_mul_f32_e32 v9, v10, v8
	v_fma_f32 v11, -v7, v9, v10
	s_delay_alu instid0(VALU_DEP_1) | instskip(NEXT) | instid1(VALU_DEP_1)
	v_fmac_f32_e32 v9, v11, v8
	v_fma_f32 v7, -v7, v9, v10
	s_delay_alu instid0(VALU_DEP_1) | instskip(NEXT) | instid1(VALU_DEP_1)
	v_div_fmas_f32 v7, v7, v8, v9
	v_div_fixup_f32 v5, v7, v6, v5
	s_delay_alu instid0(VALU_DEP_1) | instskip(SKIP_1) | instid1(VALU_DEP_2)
	v_bfe_u32 v6, v5, 16, 1
	v_cmp_o_f32_e32 vcc_lo, v5, v5
	v_add3_u32 v6, v5, v6, 0x7fff
	s_delay_alu instid0(VALU_DEP_1) | instskip(SKIP_1) | instid1(VALU_DEP_1)
	v_and_b32_e32 v6, 0xffff0000, v6
	s_waitcnt vmcnt(0)
	v_dual_cndmask_b32 v5, 0x7fc00000, v6 :: v_dual_lshlrev_b32 v4, 16, v4
	v_add_co_u32 v0, vcc_lo, v0, s14
	v_add_co_ci_u32_e32 v1, vcc_lo, 0, v1, vcc_lo
	s_delay_alu instid0(VALU_DEP_3) | instskip(NEXT) | instid1(VALU_DEP_2)
	v_mul_f32_e32 v6, v5, v4
	v_cmp_le_i64_e64 s0, s[8:9], v[0:1]
	s_delay_alu instid0(VALU_DEP_2) | instskip(SKIP_1) | instid1(VALU_DEP_3)
	v_bfe_u32 v4, v6, 16, 1
	v_cmp_o_f32_e64 s1, v6, v6
	s_or_b32 s5, s0, s5
	s_delay_alu instid0(VALU_DEP_2) | instskip(SKIP_2) | instid1(VALU_DEP_3)
	v_add3_u32 v7, v6, v4, 0x7fff
	v_add_co_u32 v4, vcc_lo, s2, v2
	v_add_co_ci_u32_e32 v5, vcc_lo, s3, v3, vcc_lo
	v_lshrrev_b32_e32 v7, 16, v7
	v_add_co_u32 v2, vcc_lo, v2, s4
	v_add_co_ci_u32_e32 v3, vcc_lo, 0, v3, vcc_lo
	s_delay_alu instid0(VALU_DEP_3)
	v_cndmask_b32_e64 v6, 0x7fc0, v7, s1
	global_store_b16 v[4:5], v6, off
	s_and_not1_b32 exec_lo, exec_lo, s5
	s_cbranch_execnz .LBB10_11
.LBB10_12:
	s_nop 0
	s_sendmsg sendmsg(MSG_DEALLOC_VGPRS)
	s_endpgm
	.section	.rodata,"a",@progbits
	.p2align	6, 0x0
	.amdhsa_kernel _ZN4vllm18act_and_mul_kernelIN3c108BFloat16E15__hip_bfloat162TnPFT_RKS4_EXadL_ZNS_11silu_kernelIS2_EES4_S6_EETnPFT0_RKSA_EXadL_ZNS_18packed_silu_kernelIS3_EES4_S6_EELb1ELb0ELb0ELb0EEEvPS4_PS5_if
		.amdhsa_group_segment_fixed_size 0
		.amdhsa_private_segment_fixed_size 0
		.amdhsa_kernarg_size 280
		.amdhsa_user_sgpr_count 15
		.amdhsa_user_sgpr_dispatch_ptr 0
		.amdhsa_user_sgpr_queue_ptr 0
		.amdhsa_user_sgpr_kernarg_segment_ptr 1
		.amdhsa_user_sgpr_dispatch_id 0
		.amdhsa_user_sgpr_private_segment_size 0
		.amdhsa_wavefront_size32 1
		.amdhsa_uses_dynamic_stack 0
		.amdhsa_enable_private_segment 0
		.amdhsa_system_sgpr_workgroup_id_x 1
		.amdhsa_system_sgpr_workgroup_id_y 0
		.amdhsa_system_sgpr_workgroup_id_z 0
		.amdhsa_system_sgpr_workgroup_info 0
		.amdhsa_system_vgpr_workitem_id 0
		.amdhsa_next_free_vgpr 29
		.amdhsa_next_free_sgpr 18
		.amdhsa_reserve_vcc 1
		.amdhsa_float_round_mode_32 0
		.amdhsa_float_round_mode_16_64 0
		.amdhsa_float_denorm_mode_32 3
		.amdhsa_float_denorm_mode_16_64 3
		.amdhsa_dx10_clamp 1
		.amdhsa_ieee_mode 1
		.amdhsa_fp16_overflow 0
		.amdhsa_workgroup_processor_mode 1
		.amdhsa_memory_ordered 1
		.amdhsa_forward_progress 0
		.amdhsa_shared_vgpr_count 0
		.amdhsa_exception_fp_ieee_invalid_op 0
		.amdhsa_exception_fp_denorm_src 0
		.amdhsa_exception_fp_ieee_div_zero 0
		.amdhsa_exception_fp_ieee_overflow 0
		.amdhsa_exception_fp_ieee_underflow 0
		.amdhsa_exception_fp_ieee_inexact 0
		.amdhsa_exception_int_div_zero 0
	.end_amdhsa_kernel
	.section	.text._ZN4vllm18act_and_mul_kernelIN3c108BFloat16E15__hip_bfloat162TnPFT_RKS4_EXadL_ZNS_11silu_kernelIS2_EES4_S6_EETnPFT0_RKSA_EXadL_ZNS_18packed_silu_kernelIS3_EES4_S6_EELb1ELb0ELb0ELb0EEEvPS4_PS5_if,"axG",@progbits,_ZN4vllm18act_and_mul_kernelIN3c108BFloat16E15__hip_bfloat162TnPFT_RKS4_EXadL_ZNS_11silu_kernelIS2_EES4_S6_EETnPFT0_RKSA_EXadL_ZNS_18packed_silu_kernelIS3_EES4_S6_EELb1ELb0ELb0ELb0EEEvPS4_PS5_if,comdat
.Lfunc_end10:
	.size	_ZN4vllm18act_and_mul_kernelIN3c108BFloat16E15__hip_bfloat162TnPFT_RKS4_EXadL_ZNS_11silu_kernelIS2_EES4_S6_EETnPFT0_RKSA_EXadL_ZNS_18packed_silu_kernelIS3_EES4_S6_EELb1ELb0ELb0ELb0EEEvPS4_PS5_if, .Lfunc_end10-_ZN4vllm18act_and_mul_kernelIN3c108BFloat16E15__hip_bfloat162TnPFT_RKS4_EXadL_ZNS_11silu_kernelIS2_EES4_S6_EETnPFT0_RKSA_EXadL_ZNS_18packed_silu_kernelIS3_EES4_S6_EELb1ELb0ELb0ELb0EEEvPS4_PS5_if
                                        ; -- End function
	.section	.AMDGPU.csdata,"",@progbits
; Kernel info:
; codeLenInByte = 2700
; NumSgprs: 20
; NumVgprs: 29
; ScratchSize: 0
; MemoryBound: 0
; FloatMode: 240
; IeeeMode: 1
; LDSByteSize: 0 bytes/workgroup (compile time only)
; SGPRBlocks: 2
; VGPRBlocks: 3
; NumSGPRsForWavesPerEU: 20
; NumVGPRsForWavesPerEU: 29
; Occupancy: 16
; WaveLimiterHint : 0
; COMPUTE_PGM_RSRC2:SCRATCH_EN: 0
; COMPUTE_PGM_RSRC2:USER_SGPR: 15
; COMPUTE_PGM_RSRC2:TRAP_HANDLER: 0
; COMPUTE_PGM_RSRC2:TGID_X_EN: 1
; COMPUTE_PGM_RSRC2:TGID_Y_EN: 0
; COMPUTE_PGM_RSRC2:TGID_Z_EN: 0
; COMPUTE_PGM_RSRC2:TIDIG_COMP_CNT: 0
	.section	.text._ZN4vllm18act_and_mul_kernelIf15HIP_vector_typeIfLj2EETnPFT_RKS3_EXadL_ZNS_11silu_kernelIfEES3_S5_EETnPFT0_RKS9_EXadL_ZNS_18packed_silu_kernelIS2_EES3_S5_EELb1ELb1ELb1ELb1EEEvPS3_PS4_if,"axG",@progbits,_ZN4vllm18act_and_mul_kernelIf15HIP_vector_typeIfLj2EETnPFT_RKS3_EXadL_ZNS_11silu_kernelIfEES3_S5_EETnPFT0_RKS9_EXadL_ZNS_18packed_silu_kernelIS2_EES3_S5_EELb1ELb1ELb1ELb1EEEvPS3_PS4_if,comdat
	.protected	_ZN4vllm18act_and_mul_kernelIf15HIP_vector_typeIfLj2EETnPFT_RKS3_EXadL_ZNS_11silu_kernelIfEES3_S5_EETnPFT0_RKS9_EXadL_ZNS_18packed_silu_kernelIS2_EES3_S5_EELb1ELb1ELb1ELb1EEEvPS3_PS4_if ; -- Begin function _ZN4vllm18act_and_mul_kernelIf15HIP_vector_typeIfLj2EETnPFT_RKS3_EXadL_ZNS_11silu_kernelIfEES3_S5_EETnPFT0_RKS9_EXadL_ZNS_18packed_silu_kernelIS2_EES3_S5_EELb1ELb1ELb1ELb1EEEvPS3_PS4_if
	.globl	_ZN4vllm18act_and_mul_kernelIf15HIP_vector_typeIfLj2EETnPFT_RKS3_EXadL_ZNS_11silu_kernelIfEES3_S5_EETnPFT0_RKS9_EXadL_ZNS_18packed_silu_kernelIS2_EES3_S5_EELb1ELb1ELb1ELb1EEEvPS3_PS4_if
	.p2align	8
	.type	_ZN4vllm18act_and_mul_kernelIf15HIP_vector_typeIfLj2EETnPFT_RKS3_EXadL_ZNS_11silu_kernelIfEES3_S5_EETnPFT0_RKS9_EXadL_ZNS_18packed_silu_kernelIS2_EES3_S5_EELb1ELb1ELb1ELb1EEEvPS3_PS4_if,@function
_ZN4vllm18act_and_mul_kernelIf15HIP_vector_typeIfLj2EETnPFT_RKS3_EXadL_ZNS_11silu_kernelIfEES3_S5_EETnPFT0_RKS9_EXadL_ZNS_18packed_silu_kernelIS2_EES3_S5_EELb1ELb1ELb1ELb1EEEvPS3_PS4_if: ; @_ZN4vllm18act_and_mul_kernelIf15HIP_vector_typeIfLj2EETnPFT_RKS3_EXadL_ZNS_11silu_kernelIfEES3_S5_EETnPFT0_RKS9_EXadL_ZNS_18packed_silu_kernelIS2_EES3_S5_EELb1ELb1ELb1ELb1EEEvPS3_PS4_if
; %bb.0:
	s_load_b32 s2, s[0:1], 0x10
	s_mov_b32 s32, 0
	s_waitcnt lgkmcnt(0)
	s_ashr_i32 s3, s2, 31
	s_delay_alu instid0(SALU_CYCLE_1) | instskip(NEXT) | instid1(SALU_CYCLE_1)
	s_lshr_b32 s3, s3, 29
	s_add_i32 s2, s2, s3
	s_delay_alu instid0(SALU_CYCLE_1) | instskip(NEXT) | instid1(SALU_CYCLE_1)
	s_ashr_i32 s2, s2, 3
	v_cmp_gt_i32_e32 vcc_lo, s2, v0
	s_and_saveexec_b32 s2, vcc_lo
	s_cbranch_execz .LBB11_2
; %bb.1:
	s_add_u32 s8, s0, 24
	s_addc_u32 s9, s1, 0
	s_getpc_b64 s[0:1]
	s_add_u32 s0, s0, .str@rel32@lo+4
	s_addc_u32 s1, s1, .str@rel32@hi+12
	s_getpc_b64 s[2:3]
	s_add_u32 s2, s2, __PRETTY_FUNCTION__._ZN4vllm5ld256ERNS_7u32x8_tEPKS0_@rel32@lo+4
	s_addc_u32 s3, s3, __PRETTY_FUNCTION__._ZN4vllm5ld256ERNS_7u32x8_tEPKS0_@rel32@hi+12
	v_dual_mov_b32 v0, s0 :: v_dual_mov_b32 v1, s1
	v_dual_mov_b32 v2, 0x93 :: v_dual_mov_b32 v3, s2
	v_mov_b32_e32 v4, s3
	s_getpc_b64 s[4:5]
	s_add_u32 s4, s4, __assert_fail@rel32@lo+4
	s_addc_u32 s5, s5, __assert_fail@rel32@hi+12
	s_delay_alu instid0(SALU_CYCLE_1)
	s_swappc_b64 s[30:31], s[4:5]
	; divergent unreachable
.LBB11_2:
	s_endpgm
	.section	.rodata,"a",@progbits
	.p2align	6, 0x0
	.amdhsa_kernel _ZN4vllm18act_and_mul_kernelIf15HIP_vector_typeIfLj2EETnPFT_RKS3_EXadL_ZNS_11silu_kernelIfEES3_S5_EETnPFT0_RKS9_EXadL_ZNS_18packed_silu_kernelIS2_EES3_S5_EELb1ELb1ELb1ELb1EEEvPS3_PS4_if
		.amdhsa_group_segment_fixed_size 0
		.amdhsa_private_segment_fixed_size 64
		.amdhsa_kernarg_size 280
		.amdhsa_user_sgpr_count 15
		.amdhsa_user_sgpr_dispatch_ptr 0
		.amdhsa_user_sgpr_queue_ptr 0
		.amdhsa_user_sgpr_kernarg_segment_ptr 1
		.amdhsa_user_sgpr_dispatch_id 0
		.amdhsa_user_sgpr_private_segment_size 0
		.amdhsa_wavefront_size32 1
		.amdhsa_uses_dynamic_stack 0
		.amdhsa_enable_private_segment 1
		.amdhsa_system_sgpr_workgroup_id_x 1
		.amdhsa_system_sgpr_workgroup_id_y 0
		.amdhsa_system_sgpr_workgroup_id_z 0
		.amdhsa_system_sgpr_workgroup_info 0
		.amdhsa_system_vgpr_workitem_id 0
		.amdhsa_next_free_vgpr 51
		.amdhsa_next_free_sgpr 34
		.amdhsa_reserve_vcc 1
		.amdhsa_float_round_mode_32 0
		.amdhsa_float_round_mode_16_64 0
		.amdhsa_float_denorm_mode_32 3
		.amdhsa_float_denorm_mode_16_64 3
		.amdhsa_dx10_clamp 1
		.amdhsa_ieee_mode 1
		.amdhsa_fp16_overflow 0
		.amdhsa_workgroup_processor_mode 1
		.amdhsa_memory_ordered 1
		.amdhsa_forward_progress 0
		.amdhsa_shared_vgpr_count 0
		.amdhsa_exception_fp_ieee_invalid_op 0
		.amdhsa_exception_fp_denorm_src 0
		.amdhsa_exception_fp_ieee_div_zero 0
		.amdhsa_exception_fp_ieee_overflow 0
		.amdhsa_exception_fp_ieee_underflow 0
		.amdhsa_exception_fp_ieee_inexact 0
		.amdhsa_exception_int_div_zero 0
	.end_amdhsa_kernel
	.section	.text._ZN4vllm18act_and_mul_kernelIf15HIP_vector_typeIfLj2EETnPFT_RKS3_EXadL_ZNS_11silu_kernelIfEES3_S5_EETnPFT0_RKS9_EXadL_ZNS_18packed_silu_kernelIS2_EES3_S5_EELb1ELb1ELb1ELb1EEEvPS3_PS4_if,"axG",@progbits,_ZN4vllm18act_and_mul_kernelIf15HIP_vector_typeIfLj2EETnPFT_RKS3_EXadL_ZNS_11silu_kernelIfEES3_S5_EETnPFT0_RKS9_EXadL_ZNS_18packed_silu_kernelIS2_EES3_S5_EELb1ELb1ELb1ELb1EEEvPS3_PS4_if,comdat
.Lfunc_end11:
	.size	_ZN4vllm18act_and_mul_kernelIf15HIP_vector_typeIfLj2EETnPFT_RKS3_EXadL_ZNS_11silu_kernelIfEES3_S5_EETnPFT0_RKS9_EXadL_ZNS_18packed_silu_kernelIS2_EES3_S5_EELb1ELb1ELb1ELb1EEEvPS3_PS4_if, .Lfunc_end11-_ZN4vllm18act_and_mul_kernelIf15HIP_vector_typeIfLj2EETnPFT_RKS3_EXadL_ZNS_11silu_kernelIfEES3_S5_EETnPFT0_RKS9_EXadL_ZNS_18packed_silu_kernelIS2_EES3_S5_EELb1ELb1ELb1ELb1EEEvPS3_PS4_if
                                        ; -- End function
	.section	.AMDGPU.csdata,"",@progbits
; Kernel info:
; codeLenInByte = 156
; NumSgprs: 36
; NumVgprs: 51
; ScratchSize: 64
; MemoryBound: 0
; FloatMode: 240
; IeeeMode: 1
; LDSByteSize: 0 bytes/workgroup (compile time only)
; SGPRBlocks: 4
; VGPRBlocks: 6
; NumSGPRsForWavesPerEU: 36
; NumVGPRsForWavesPerEU: 51
; Occupancy: 16
; WaveLimiterHint : 1
; COMPUTE_PGM_RSRC2:SCRATCH_EN: 1
; COMPUTE_PGM_RSRC2:USER_SGPR: 15
; COMPUTE_PGM_RSRC2:TRAP_HANDLER: 0
; COMPUTE_PGM_RSRC2:TGID_X_EN: 1
; COMPUTE_PGM_RSRC2:TGID_Y_EN: 0
; COMPUTE_PGM_RSRC2:TGID_Z_EN: 0
; COMPUTE_PGM_RSRC2:TIDIG_COMP_CNT: 0
	.section	.text._ZN4vllm18act_and_mul_kernelIN3c104HalfE7__half2TnPFT_RKS4_EXadL_ZNS_11silu_kernelIS2_EES4_S6_EETnPFT0_RKSA_EXadL_ZNS_18packed_silu_kernelIS3_EES4_S6_EELb1ELb1ELb1ELb1EEEvPS4_PS5_if,"axG",@progbits,_ZN4vllm18act_and_mul_kernelIN3c104HalfE7__half2TnPFT_RKS4_EXadL_ZNS_11silu_kernelIS2_EES4_S6_EETnPFT0_RKSA_EXadL_ZNS_18packed_silu_kernelIS3_EES4_S6_EELb1ELb1ELb1ELb1EEEvPS4_PS5_if,comdat
	.protected	_ZN4vllm18act_and_mul_kernelIN3c104HalfE7__half2TnPFT_RKS4_EXadL_ZNS_11silu_kernelIS2_EES4_S6_EETnPFT0_RKSA_EXadL_ZNS_18packed_silu_kernelIS3_EES4_S6_EELb1ELb1ELb1ELb1EEEvPS4_PS5_if ; -- Begin function _ZN4vllm18act_and_mul_kernelIN3c104HalfE7__half2TnPFT_RKS4_EXadL_ZNS_11silu_kernelIS2_EES4_S6_EETnPFT0_RKSA_EXadL_ZNS_18packed_silu_kernelIS3_EES4_S6_EELb1ELb1ELb1ELb1EEEvPS4_PS5_if
	.globl	_ZN4vllm18act_and_mul_kernelIN3c104HalfE7__half2TnPFT_RKS4_EXadL_ZNS_11silu_kernelIS2_EES4_S6_EETnPFT0_RKSA_EXadL_ZNS_18packed_silu_kernelIS3_EES4_S6_EELb1ELb1ELb1ELb1EEEvPS4_PS5_if
	.p2align	8
	.type	_ZN4vllm18act_and_mul_kernelIN3c104HalfE7__half2TnPFT_RKS4_EXadL_ZNS_11silu_kernelIS2_EES4_S6_EETnPFT0_RKSA_EXadL_ZNS_18packed_silu_kernelIS3_EES4_S6_EELb1ELb1ELb1ELb1EEEvPS4_PS5_if,@function
_ZN4vllm18act_and_mul_kernelIN3c104HalfE7__half2TnPFT_RKS4_EXadL_ZNS_11silu_kernelIS2_EES4_S6_EETnPFT0_RKSA_EXadL_ZNS_18packed_silu_kernelIS3_EES4_S6_EELb1ELb1ELb1ELb1EEEvPS4_PS5_if: ; @_ZN4vllm18act_and_mul_kernelIN3c104HalfE7__half2TnPFT_RKS4_EXadL_ZNS_11silu_kernelIS2_EES4_S6_EETnPFT0_RKSA_EXadL_ZNS_18packed_silu_kernelIS3_EES4_S6_EELb1ELb1ELb1ELb1EEEvPS4_PS5_if
; %bb.0:
	s_load_b32 s2, s[0:1], 0x10
	s_mov_b32 s32, 0
	s_waitcnt lgkmcnt(0)
	s_ashr_i32 s3, s2, 31
	s_delay_alu instid0(SALU_CYCLE_1) | instskip(NEXT) | instid1(SALU_CYCLE_1)
	s_lshr_b32 s3, s3, 28
	s_add_i32 s2, s2, s3
	s_delay_alu instid0(SALU_CYCLE_1) | instskip(NEXT) | instid1(SALU_CYCLE_1)
	s_ashr_i32 s2, s2, 4
	v_cmp_gt_i32_e32 vcc_lo, s2, v0
	s_and_saveexec_b32 s2, vcc_lo
	s_cbranch_execz .LBB12_2
; %bb.1:
	s_add_u32 s8, s0, 24
	s_addc_u32 s9, s1, 0
	s_getpc_b64 s[0:1]
	s_add_u32 s0, s0, .str@rel32@lo+4
	s_addc_u32 s1, s1, .str@rel32@hi+12
	s_getpc_b64 s[2:3]
	s_add_u32 s2, s2, __PRETTY_FUNCTION__._ZN4vllm5ld256ERNS_7u32x8_tEPKS0_@rel32@lo+4
	s_addc_u32 s3, s3, __PRETTY_FUNCTION__._ZN4vllm5ld256ERNS_7u32x8_tEPKS0_@rel32@hi+12
	v_dual_mov_b32 v0, s0 :: v_dual_mov_b32 v1, s1
	v_dual_mov_b32 v2, 0x93 :: v_dual_mov_b32 v3, s2
	v_mov_b32_e32 v4, s3
	s_getpc_b64 s[4:5]
	s_add_u32 s4, s4, __assert_fail@rel32@lo+4
	s_addc_u32 s5, s5, __assert_fail@rel32@hi+12
	s_delay_alu instid0(SALU_CYCLE_1)
	s_swappc_b64 s[30:31], s[4:5]
	; divergent unreachable
.LBB12_2:
	s_endpgm
	.section	.rodata,"a",@progbits
	.p2align	6, 0x0
	.amdhsa_kernel _ZN4vllm18act_and_mul_kernelIN3c104HalfE7__half2TnPFT_RKS4_EXadL_ZNS_11silu_kernelIS2_EES4_S6_EETnPFT0_RKSA_EXadL_ZNS_18packed_silu_kernelIS3_EES4_S6_EELb1ELb1ELb1ELb1EEEvPS4_PS5_if
		.amdhsa_group_segment_fixed_size 0
		.amdhsa_private_segment_fixed_size 64
		.amdhsa_kernarg_size 280
		.amdhsa_user_sgpr_count 15
		.amdhsa_user_sgpr_dispatch_ptr 0
		.amdhsa_user_sgpr_queue_ptr 0
		.amdhsa_user_sgpr_kernarg_segment_ptr 1
		.amdhsa_user_sgpr_dispatch_id 0
		.amdhsa_user_sgpr_private_segment_size 0
		.amdhsa_wavefront_size32 1
		.amdhsa_uses_dynamic_stack 0
		.amdhsa_enable_private_segment 1
		.amdhsa_system_sgpr_workgroup_id_x 1
		.amdhsa_system_sgpr_workgroup_id_y 0
		.amdhsa_system_sgpr_workgroup_id_z 0
		.amdhsa_system_sgpr_workgroup_info 0
		.amdhsa_system_vgpr_workitem_id 0
		.amdhsa_next_free_vgpr 51
		.amdhsa_next_free_sgpr 34
		.amdhsa_reserve_vcc 1
		.amdhsa_float_round_mode_32 0
		.amdhsa_float_round_mode_16_64 0
		.amdhsa_float_denorm_mode_32 3
		.amdhsa_float_denorm_mode_16_64 3
		.amdhsa_dx10_clamp 1
		.amdhsa_ieee_mode 1
		.amdhsa_fp16_overflow 0
		.amdhsa_workgroup_processor_mode 1
		.amdhsa_memory_ordered 1
		.amdhsa_forward_progress 0
		.amdhsa_shared_vgpr_count 0
		.amdhsa_exception_fp_ieee_invalid_op 0
		.amdhsa_exception_fp_denorm_src 0
		.amdhsa_exception_fp_ieee_div_zero 0
		.amdhsa_exception_fp_ieee_overflow 0
		.amdhsa_exception_fp_ieee_underflow 0
		.amdhsa_exception_fp_ieee_inexact 0
		.amdhsa_exception_int_div_zero 0
	.end_amdhsa_kernel
	.section	.text._ZN4vllm18act_and_mul_kernelIN3c104HalfE7__half2TnPFT_RKS4_EXadL_ZNS_11silu_kernelIS2_EES4_S6_EETnPFT0_RKSA_EXadL_ZNS_18packed_silu_kernelIS3_EES4_S6_EELb1ELb1ELb1ELb1EEEvPS4_PS5_if,"axG",@progbits,_ZN4vllm18act_and_mul_kernelIN3c104HalfE7__half2TnPFT_RKS4_EXadL_ZNS_11silu_kernelIS2_EES4_S6_EETnPFT0_RKSA_EXadL_ZNS_18packed_silu_kernelIS3_EES4_S6_EELb1ELb1ELb1ELb1EEEvPS4_PS5_if,comdat
.Lfunc_end12:
	.size	_ZN4vllm18act_and_mul_kernelIN3c104HalfE7__half2TnPFT_RKS4_EXadL_ZNS_11silu_kernelIS2_EES4_S6_EETnPFT0_RKSA_EXadL_ZNS_18packed_silu_kernelIS3_EES4_S6_EELb1ELb1ELb1ELb1EEEvPS4_PS5_if, .Lfunc_end12-_ZN4vllm18act_and_mul_kernelIN3c104HalfE7__half2TnPFT_RKS4_EXadL_ZNS_11silu_kernelIS2_EES4_S6_EETnPFT0_RKSA_EXadL_ZNS_18packed_silu_kernelIS3_EES4_S6_EELb1ELb1ELb1ELb1EEEvPS4_PS5_if
                                        ; -- End function
	.section	.AMDGPU.csdata,"",@progbits
; Kernel info:
; codeLenInByte = 156
; NumSgprs: 36
; NumVgprs: 51
; ScratchSize: 64
; MemoryBound: 0
; FloatMode: 240
; IeeeMode: 1
; LDSByteSize: 0 bytes/workgroup (compile time only)
; SGPRBlocks: 4
; VGPRBlocks: 6
; NumSGPRsForWavesPerEU: 36
; NumVGPRsForWavesPerEU: 51
; Occupancy: 16
; WaveLimiterHint : 1
; COMPUTE_PGM_RSRC2:SCRATCH_EN: 1
; COMPUTE_PGM_RSRC2:USER_SGPR: 15
; COMPUTE_PGM_RSRC2:TRAP_HANDLER: 0
; COMPUTE_PGM_RSRC2:TGID_X_EN: 1
; COMPUTE_PGM_RSRC2:TGID_Y_EN: 0
; COMPUTE_PGM_RSRC2:TGID_Z_EN: 0
; COMPUTE_PGM_RSRC2:TIDIG_COMP_CNT: 0
	.section	.text._ZN4vllm18act_and_mul_kernelIN3c108BFloat16E15__hip_bfloat162TnPFT_RKS4_EXadL_ZNS_11silu_kernelIS2_EES4_S6_EETnPFT0_RKSA_EXadL_ZNS_18packed_silu_kernelIS3_EES4_S6_EELb1ELb1ELb1ELb1EEEvPS4_PS5_if,"axG",@progbits,_ZN4vllm18act_and_mul_kernelIN3c108BFloat16E15__hip_bfloat162TnPFT_RKS4_EXadL_ZNS_11silu_kernelIS2_EES4_S6_EETnPFT0_RKSA_EXadL_ZNS_18packed_silu_kernelIS3_EES4_S6_EELb1ELb1ELb1ELb1EEEvPS4_PS5_if,comdat
	.protected	_ZN4vllm18act_and_mul_kernelIN3c108BFloat16E15__hip_bfloat162TnPFT_RKS4_EXadL_ZNS_11silu_kernelIS2_EES4_S6_EETnPFT0_RKSA_EXadL_ZNS_18packed_silu_kernelIS3_EES4_S6_EELb1ELb1ELb1ELb1EEEvPS4_PS5_if ; -- Begin function _ZN4vllm18act_and_mul_kernelIN3c108BFloat16E15__hip_bfloat162TnPFT_RKS4_EXadL_ZNS_11silu_kernelIS2_EES4_S6_EETnPFT0_RKSA_EXadL_ZNS_18packed_silu_kernelIS3_EES4_S6_EELb1ELb1ELb1ELb1EEEvPS4_PS5_if
	.globl	_ZN4vllm18act_and_mul_kernelIN3c108BFloat16E15__hip_bfloat162TnPFT_RKS4_EXadL_ZNS_11silu_kernelIS2_EES4_S6_EETnPFT0_RKSA_EXadL_ZNS_18packed_silu_kernelIS3_EES4_S6_EELb1ELb1ELb1ELb1EEEvPS4_PS5_if
	.p2align	8
	.type	_ZN4vllm18act_and_mul_kernelIN3c108BFloat16E15__hip_bfloat162TnPFT_RKS4_EXadL_ZNS_11silu_kernelIS2_EES4_S6_EETnPFT0_RKSA_EXadL_ZNS_18packed_silu_kernelIS3_EES4_S6_EELb1ELb1ELb1ELb1EEEvPS4_PS5_if,@function
_ZN4vllm18act_and_mul_kernelIN3c108BFloat16E15__hip_bfloat162TnPFT_RKS4_EXadL_ZNS_11silu_kernelIS2_EES4_S6_EETnPFT0_RKSA_EXadL_ZNS_18packed_silu_kernelIS3_EES4_S6_EELb1ELb1ELb1ELb1EEEvPS4_PS5_if: ; @_ZN4vllm18act_and_mul_kernelIN3c108BFloat16E15__hip_bfloat162TnPFT_RKS4_EXadL_ZNS_11silu_kernelIS2_EES4_S6_EETnPFT0_RKSA_EXadL_ZNS_18packed_silu_kernelIS3_EES4_S6_EELb1ELb1ELb1ELb1EEEvPS4_PS5_if
; %bb.0:
	s_load_b32 s2, s[0:1], 0x10
	s_mov_b32 s32, 0
	s_waitcnt lgkmcnt(0)
	s_ashr_i32 s3, s2, 31
	s_delay_alu instid0(SALU_CYCLE_1) | instskip(NEXT) | instid1(SALU_CYCLE_1)
	s_lshr_b32 s3, s3, 28
	s_add_i32 s2, s2, s3
	s_delay_alu instid0(SALU_CYCLE_1) | instskip(NEXT) | instid1(SALU_CYCLE_1)
	s_ashr_i32 s2, s2, 4
	v_cmp_gt_i32_e32 vcc_lo, s2, v0
	s_and_saveexec_b32 s2, vcc_lo
	s_cbranch_execz .LBB13_2
; %bb.1:
	s_add_u32 s8, s0, 24
	s_addc_u32 s9, s1, 0
	s_getpc_b64 s[0:1]
	s_add_u32 s0, s0, .str@rel32@lo+4
	s_addc_u32 s1, s1, .str@rel32@hi+12
	s_getpc_b64 s[2:3]
	s_add_u32 s2, s2, __PRETTY_FUNCTION__._ZN4vllm5ld256ERNS_7u32x8_tEPKS0_@rel32@lo+4
	s_addc_u32 s3, s3, __PRETTY_FUNCTION__._ZN4vllm5ld256ERNS_7u32x8_tEPKS0_@rel32@hi+12
	v_dual_mov_b32 v0, s0 :: v_dual_mov_b32 v1, s1
	v_dual_mov_b32 v2, 0x93 :: v_dual_mov_b32 v3, s2
	v_mov_b32_e32 v4, s3
	s_getpc_b64 s[4:5]
	s_add_u32 s4, s4, __assert_fail@rel32@lo+4
	s_addc_u32 s5, s5, __assert_fail@rel32@hi+12
	s_delay_alu instid0(SALU_CYCLE_1)
	s_swappc_b64 s[30:31], s[4:5]
	; divergent unreachable
.LBB13_2:
	s_endpgm
	.section	.rodata,"a",@progbits
	.p2align	6, 0x0
	.amdhsa_kernel _ZN4vllm18act_and_mul_kernelIN3c108BFloat16E15__hip_bfloat162TnPFT_RKS4_EXadL_ZNS_11silu_kernelIS2_EES4_S6_EETnPFT0_RKSA_EXadL_ZNS_18packed_silu_kernelIS3_EES4_S6_EELb1ELb1ELb1ELb1EEEvPS4_PS5_if
		.amdhsa_group_segment_fixed_size 0
		.amdhsa_private_segment_fixed_size 64
		.amdhsa_kernarg_size 280
		.amdhsa_user_sgpr_count 15
		.amdhsa_user_sgpr_dispatch_ptr 0
		.amdhsa_user_sgpr_queue_ptr 0
		.amdhsa_user_sgpr_kernarg_segment_ptr 1
		.amdhsa_user_sgpr_dispatch_id 0
		.amdhsa_user_sgpr_private_segment_size 0
		.amdhsa_wavefront_size32 1
		.amdhsa_uses_dynamic_stack 0
		.amdhsa_enable_private_segment 1
		.amdhsa_system_sgpr_workgroup_id_x 1
		.amdhsa_system_sgpr_workgroup_id_y 0
		.amdhsa_system_sgpr_workgroup_id_z 0
		.amdhsa_system_sgpr_workgroup_info 0
		.amdhsa_system_vgpr_workitem_id 0
		.amdhsa_next_free_vgpr 51
		.amdhsa_next_free_sgpr 34
		.amdhsa_reserve_vcc 1
		.amdhsa_float_round_mode_32 0
		.amdhsa_float_round_mode_16_64 0
		.amdhsa_float_denorm_mode_32 3
		.amdhsa_float_denorm_mode_16_64 3
		.amdhsa_dx10_clamp 1
		.amdhsa_ieee_mode 1
		.amdhsa_fp16_overflow 0
		.amdhsa_workgroup_processor_mode 1
		.amdhsa_memory_ordered 1
		.amdhsa_forward_progress 0
		.amdhsa_shared_vgpr_count 0
		.amdhsa_exception_fp_ieee_invalid_op 0
		.amdhsa_exception_fp_denorm_src 0
		.amdhsa_exception_fp_ieee_div_zero 0
		.amdhsa_exception_fp_ieee_overflow 0
		.amdhsa_exception_fp_ieee_underflow 0
		.amdhsa_exception_fp_ieee_inexact 0
		.amdhsa_exception_int_div_zero 0
	.end_amdhsa_kernel
	.section	.text._ZN4vllm18act_and_mul_kernelIN3c108BFloat16E15__hip_bfloat162TnPFT_RKS4_EXadL_ZNS_11silu_kernelIS2_EES4_S6_EETnPFT0_RKSA_EXadL_ZNS_18packed_silu_kernelIS3_EES4_S6_EELb1ELb1ELb1ELb1EEEvPS4_PS5_if,"axG",@progbits,_ZN4vllm18act_and_mul_kernelIN3c108BFloat16E15__hip_bfloat162TnPFT_RKS4_EXadL_ZNS_11silu_kernelIS2_EES4_S6_EETnPFT0_RKSA_EXadL_ZNS_18packed_silu_kernelIS3_EES4_S6_EELb1ELb1ELb1ELb1EEEvPS4_PS5_if,comdat
.Lfunc_end13:
	.size	_ZN4vllm18act_and_mul_kernelIN3c108BFloat16E15__hip_bfloat162TnPFT_RKS4_EXadL_ZNS_11silu_kernelIS2_EES4_S6_EETnPFT0_RKSA_EXadL_ZNS_18packed_silu_kernelIS3_EES4_S6_EELb1ELb1ELb1ELb1EEEvPS4_PS5_if, .Lfunc_end13-_ZN4vllm18act_and_mul_kernelIN3c108BFloat16E15__hip_bfloat162TnPFT_RKS4_EXadL_ZNS_11silu_kernelIS2_EES4_S6_EETnPFT0_RKSA_EXadL_ZNS_18packed_silu_kernelIS3_EES4_S6_EELb1ELb1ELb1ELb1EEEvPS4_PS5_if
                                        ; -- End function
	.section	.AMDGPU.csdata,"",@progbits
; Kernel info:
; codeLenInByte = 156
; NumSgprs: 36
; NumVgprs: 51
; ScratchSize: 64
; MemoryBound: 0
; FloatMode: 240
; IeeeMode: 1
; LDSByteSize: 0 bytes/workgroup (compile time only)
; SGPRBlocks: 4
; VGPRBlocks: 6
; NumSGPRsForWavesPerEU: 36
; NumVGPRsForWavesPerEU: 51
; Occupancy: 16
; WaveLimiterHint : 1
; COMPUTE_PGM_RSRC2:SCRATCH_EN: 1
; COMPUTE_PGM_RSRC2:USER_SGPR: 15
; COMPUTE_PGM_RSRC2:TRAP_HANDLER: 0
; COMPUTE_PGM_RSRC2:TGID_X_EN: 1
; COMPUTE_PGM_RSRC2:TGID_Y_EN: 0
; COMPUTE_PGM_RSRC2:TGID_Z_EN: 0
; COMPUTE_PGM_RSRC2:TIDIG_COMP_CNT: 0
	.section	.text._ZN4vllm18act_and_mul_kernelIf15HIP_vector_typeIfLj2EETnPFT_RKS3_EXadL_ZNS_11silu_kernelIfEES3_S5_EETnPFT0_RKS9_EXadL_ZNS_18packed_silu_kernelIS2_EES3_S5_EELb1ELb1ELb1ELb0EEEvPS3_PS4_if,"axG",@progbits,_ZN4vllm18act_and_mul_kernelIf15HIP_vector_typeIfLj2EETnPFT_RKS3_EXadL_ZNS_11silu_kernelIfEES3_S5_EETnPFT0_RKS9_EXadL_ZNS_18packed_silu_kernelIS2_EES3_S5_EELb1ELb1ELb1ELb0EEEvPS3_PS4_if,comdat
	.protected	_ZN4vllm18act_and_mul_kernelIf15HIP_vector_typeIfLj2EETnPFT_RKS3_EXadL_ZNS_11silu_kernelIfEES3_S5_EETnPFT0_RKS9_EXadL_ZNS_18packed_silu_kernelIS2_EES3_S5_EELb1ELb1ELb1ELb0EEEvPS3_PS4_if ; -- Begin function _ZN4vllm18act_and_mul_kernelIf15HIP_vector_typeIfLj2EETnPFT_RKS3_EXadL_ZNS_11silu_kernelIfEES3_S5_EETnPFT0_RKS9_EXadL_ZNS_18packed_silu_kernelIS2_EES3_S5_EELb1ELb1ELb1ELb0EEEvPS3_PS4_if
	.globl	_ZN4vllm18act_and_mul_kernelIf15HIP_vector_typeIfLj2EETnPFT_RKS3_EXadL_ZNS_11silu_kernelIfEES3_S5_EETnPFT0_RKS9_EXadL_ZNS_18packed_silu_kernelIS2_EES3_S5_EELb1ELb1ELb1ELb0EEEvPS3_PS4_if
	.p2align	8
	.type	_ZN4vllm18act_and_mul_kernelIf15HIP_vector_typeIfLj2EETnPFT_RKS3_EXadL_ZNS_11silu_kernelIfEES3_S5_EETnPFT0_RKS9_EXadL_ZNS_18packed_silu_kernelIS2_EES3_S5_EELb1ELb1ELb1ELb0EEEvPS3_PS4_if,@function
_ZN4vllm18act_and_mul_kernelIf15HIP_vector_typeIfLj2EETnPFT_RKS3_EXadL_ZNS_11silu_kernelIfEES3_S5_EETnPFT0_RKS9_EXadL_ZNS_18packed_silu_kernelIS2_EES3_S5_EELb1ELb1ELb1ELb0EEEvPS3_PS4_if: ; @_ZN4vllm18act_and_mul_kernelIf15HIP_vector_typeIfLj2EETnPFT_RKS3_EXadL_ZNS_11silu_kernelIfEES3_S5_EETnPFT0_RKS9_EXadL_ZNS_18packed_silu_kernelIS2_EES3_S5_EELb1ELb1ELb1ELb0EEEvPS3_PS4_if
; %bb.0:
	s_load_b64 s[4:5], s[0:1], 0x10
	s_waitcnt lgkmcnt(0)
	s_ashr_i32 s7, s4, 31
	s_delay_alu instid0(SALU_CYCLE_1) | instskip(NEXT) | instid1(SALU_CYCLE_1)
	s_lshr_b32 s2, s7, 30
	s_add_i32 s2, s4, s2
	s_delay_alu instid0(SALU_CYCLE_1)
	s_ashr_i32 s8, s2, 2
	s_mov_b32 s2, exec_lo
	v_cmpx_gt_i32_e64 s8, v0
	s_cbranch_execz .LBB14_3
; %bb.1:
	s_clause 0x1
	s_load_b32 s9, s[0:1], 0x24
	s_load_b128 s[16:19], s[0:1], 0x0
	s_mul_i32 s0, s15, s4
	s_mov_b32 s3, 0
	s_lshl_b32 s2, s0, 1
	v_lshlrev_b32_e32 v4, 4, v0
	s_lshl_b64 s[10:11], s[2:3], 2
	s_mov_b32 s1, s3
	s_mov_b32 s6, s4
	v_max_f32_e64 v1, s5, s5
	v_max_f32_e64 v8, -s5, -s5
	s_waitcnt lgkmcnt(0)
	s_and_b32 s9, s9, 0xffff
	s_add_u32 s2, s18, s10
	s_addc_u32 s4, s19, s11
	v_add_co_u32 v2, s2, s2, v4
	s_lshl_b64 s[0:1], s[0:1], 2
	s_lshl_b32 s10, s9, 4
	s_lshl_b64 s[6:7], s[6:7], 2
	v_add_co_ci_u32_e64 v3, null, s4, 0, s2
	s_add_u32 s0, s16, s0
	s_addc_u32 s1, s17, s1
	v_add_co_u32 v4, s0, s0, v4
	v_add_co_u32 v6, vcc_lo, v2, s6
	v_add_co_ci_u32_e64 v5, null, s1, 0, s0
	v_add_co_ci_u32_e32 v7, vcc_lo, s7, v3, vcc_lo
	s_mov_b64 s[4:5], 0
.LBB14_2:                               ; =>This Inner Loop Header: Depth=1
	s_delay_alu instid0(SALU_CYCLE_1)
	v_add_co_u32 v9, vcc_lo, v2, s4
	v_add_co_ci_u32_e32 v10, vcc_lo, s5, v3, vcc_lo
	v_add_co_u32 v13, vcc_lo, v6, s4
	v_add_co_ci_u32_e32 v14, vcc_lo, s5, v7, vcc_lo
	v_add_co_u32 v17, vcc_lo, v4, s4
	s_clause 0x1
	global_load_b128 v[9:12], v[9:10], off
	global_load_b128 v[13:16], v[13:14], off
	v_add_nc_u32_e32 v0, s9, v0
	v_add_co_ci_u32_e32 v18, vcc_lo, s5, v5, vcc_lo
	s_add_u32 s4, s4, s10
	s_addc_u32 s5, s5, 0
	s_waitcnt vmcnt(0)
	v_dual_max_f32 v9, v9, v9 :: v_dual_max_f32 v16, v16, v16
	v_dual_max_f32 v10, v10, v10 :: v_dual_max_f32 v13, v13, v13
	;; [unrolled: 1-line block ×3, first 2 shown]
	s_delay_alu instid0(VALU_DEP_3) | instskip(SKIP_1) | instid1(VALU_DEP_3)
	v_dual_min_f32 v9, v9, v1 :: v_dual_max_f32 v12, v12, v12
	v_max_f32_e32 v15, v15, v15
	v_minmax_f32 v14, v14, v1, v8
	s_delay_alu instid0(VALU_DEP_4) | instskip(NEXT) | instid1(VALU_DEP_4)
	v_min_f32_e32 v11, v11, v1
	v_mul_f32_e32 v19, 0xbfb8aa3b, v9
	v_min_f32_e32 v10, v10, v1
	v_cmp_nlt_f32_e64 s2, 0x42ce8ed0, v9
	v_minmax_f32 v13, v13, v1, v8
	v_mul_f32_e32 v21, 0xbfb8aa3b, v11
	v_rndne_f32_e32 v24, v19
	v_min_f32_e32 v12, v12, v1
	v_mul_f32_e32 v20, 0xbfb8aa3b, v10
	v_fma_f32 v23, 0xbfb8aa3b, v9, -v19
	v_fma_f32 v27, 0xbfb8aa3b, v11, -v21
	v_sub_f32_e32 v19, v19, v24
	v_mul_f32_e32 v22, 0xbfb8aa3b, v12
	v_fma_f32 v25, 0xbfb8aa3b, v10, -v20
	v_rndne_f32_e32 v26, v20
	v_rndne_f32_e32 v28, v21
	v_fmac_f32_e32 v23, 0xb2a5705f, v9
	v_fma_f32 v29, 0xbfb8aa3b, v12, -v22
	v_rndne_f32_e32 v30, v22
	v_dual_sub_f32 v20, v20, v26 :: v_dual_fmac_f32 v27, 0xb2a5705f, v11
	v_cvt_i32_f32_e32 v26, v26
	s_delay_alu instid0(VALU_DEP_3)
	v_dual_fmac_f32 v29, 0xb2a5705f, v12 :: v_dual_sub_f32 v22, v22, v30
	v_fmac_f32_e32 v25, 0xb2a5705f, v10
	v_cmp_nlt_f32_e32 vcc_lo, 0x42ce8ed0, v10
	v_cvt_i32_f32_e32 v24, v24
	v_cvt_i32_f32_e32 v30, v30
	v_dual_add_f32 v22, v22, v29 :: v_dual_sub_f32 v21, v21, v28
	v_add_f32_e32 v20, v20, v25
	v_cvt_i32_f32_e32 v28, v28
	v_cmp_nlt_f32_e64 s1, 0x42ce8ed0, v12
	s_delay_alu instid0(VALU_DEP_4)
	v_exp_f32_e32 v22, v22
	v_cmp_nlt_f32_e64 s0, 0x42ce8ed0, v11
	v_exp_f32_e32 v20, v20
	v_minmax_f32 v15, v15, v1, v8
	v_minmax_f32 v16, v16, v1, v8
	s_waitcnt_depctr 0xfff
	v_ldexp_f32 v22, v22, v30
	v_ldexp_f32 v20, v20, v26
	v_add_f32_e32 v19, v19, v23
	s_delay_alu instid0(VALU_DEP_3) | instskip(SKIP_1) | instid1(VALU_DEP_4)
	v_cndmask_b32_e64 v22, 0, v22, s1
	v_cmp_ngt_f32_e64 s1, 0xc2b17218, v12
	v_cndmask_b32_e32 v20, 0, v20, vcc_lo
	s_delay_alu instid0(VALU_DEP_4) | instskip(SKIP_4) | instid1(VALU_DEP_3)
	v_exp_f32_e32 v19, v19
	v_cmp_ngt_f32_e32 vcc_lo, 0xc2b17218, v10
	v_add_f32_e32 v21, v21, v27
	v_cndmask_b32_e64 v22, 0x7f800000, v22, s1
	v_cndmask_b32_e32 v20, 0x7f800000, v20, vcc_lo
	v_exp_f32_e32 v21, v21
	s_delay_alu instid0(VALU_DEP_2) | instskip(NEXT) | instid1(TRANS32_DEP_2)
	v_add_f32_e32 v22, 1.0, v22
	v_ldexp_f32 v19, v19, v24
	s_delay_alu instid0(VALU_DEP_3) | instskip(NEXT) | instid1(VALU_DEP_3)
	v_add_f32_e32 v20, 1.0, v20
	v_div_scale_f32 v29, null, v22, v22, v12
	s_delay_alu instid0(VALU_DEP_3) | instskip(SKIP_1) | instid1(TRANS32_DEP_1)
	v_cndmask_b32_e64 v19, 0, v19, s2
	v_cmp_ngt_f32_e64 s2, 0xc2b17218, v9
	v_ldexp_f32 v21, v21, v28
	s_delay_alu instid0(VALU_DEP_4) | instskip(SKIP_1) | instid1(VALU_DEP_3)
	v_rcp_f32_e32 v34, v29
	v_div_scale_f32 v25, null, v20, v20, v10
	v_cndmask_b32_e64 v19, 0x7f800000, v19, s2
	s_delay_alu instid0(VALU_DEP_3) | instskip(SKIP_2) | instid1(VALU_DEP_4)
	v_cndmask_b32_e64 v21, 0, v21, s0
	v_cmp_ngt_f32_e64 s0, 0xc2b17218, v11
	v_div_scale_f32 v30, s2, v12, v22, v12
	v_add_f32_e32 v19, 1.0, v19
	v_rcp_f32_e32 v32, v25
	s_delay_alu instid0(VALU_DEP_3) | instskip(NEXT) | instid1(TRANS32_DEP_2)
	v_cndmask_b32_e64 v21, 0x7f800000, v21, s0
	v_fma_f32 v38, -v29, v34, 1.0
	v_div_scale_f32 v26, s0, v10, v20, v10
	v_div_scale_f32 v23, null, v19, v19, v9
	v_div_scale_f32 v24, vcc_lo, v9, v19, v9
	s_delay_alu instid0(VALU_DEP_4) | instskip(NEXT) | instid1(TRANS32_DEP_1)
	v_fmac_f32_e32 v34, v38, v34
	v_fma_f32 v36, -v25, v32, 1.0
	v_add_f32_e32 v21, 1.0, v21
	v_rcp_f32_e32 v31, v23
	s_delay_alu instid0(VALU_DEP_3) | instskip(NEXT) | instid1(VALU_DEP_3)
	v_mul_f32_e32 v38, v30, v34
	v_fmac_f32_e32 v32, v36, v32
	s_delay_alu instid0(VALU_DEP_3) | instskip(SKIP_1) | instid1(VALU_DEP_4)
	v_div_scale_f32 v27, null, v21, v21, v11
	v_div_scale_f32 v28, s1, v11, v21, v11
	v_fma_f32 v42, -v29, v38, v30
	s_delay_alu instid0(VALU_DEP_3) | instskip(NEXT) | instid1(TRANS32_DEP_2)
	v_rcp_f32_e32 v33, v27
	v_fma_f32 v35, -v23, v31, 1.0
	v_mul_f32_e32 v36, v26, v32
	s_delay_alu instid0(VALU_DEP_2) | instskip(NEXT) | instid1(VALU_DEP_2)
	v_dual_fmac_f32 v38, v42, v34 :: v_dual_fmac_f32 v31, v35, v31
	v_fma_f32 v40, -v25, v36, v26
	s_waitcnt_depctr 0xfff
	v_fma_f32 v37, -v27, v33, 1.0
	v_mul_f32_e32 v35, v24, v31
	s_delay_alu instid0(VALU_DEP_2) | instskip(NEXT) | instid1(VALU_DEP_2)
	v_dual_fmac_f32 v36, v40, v32 :: v_dual_fmac_f32 v33, v37, v33
	v_fma_f32 v39, -v23, v35, v24
	s_delay_alu instid0(VALU_DEP_2) | instskip(NEXT) | instid1(VALU_DEP_2)
	v_mul_f32_e32 v37, v28, v33
	v_fmac_f32_e32 v35, v39, v31
	s_delay_alu instid0(VALU_DEP_2) | instskip(NEXT) | instid1(VALU_DEP_2)
	v_fma_f32 v41, -v27, v37, v28
	v_fma_f32 v23, -v23, v35, v24
	;; [unrolled: 1-line block ×4, first 2 shown]
	s_delay_alu instid0(VALU_DEP_3) | instskip(SKIP_1) | instid1(VALU_DEP_3)
	v_div_fmas_f32 v23, v23, v31, v35
	s_mov_b32 vcc_lo, s0
	v_div_fmas_f32 v24, v24, v32, v36
	s_mov_b32 vcc_lo, s1
	s_delay_alu instid0(VALU_DEP_2) | instskip(NEXT) | instid1(VALU_DEP_2)
	v_div_fixup_f32 v9, v23, v19, v9
	v_div_fixup_f32 v10, v24, v20, v10
	s_delay_alu instid0(VALU_DEP_1) | instskip(NEXT) | instid1(VALU_DEP_1)
	v_dual_fmac_f32 v37, v41, v33 :: v_dual_mul_f32 v10, v14, v10
	v_fma_f32 v25, -v27, v37, v28
	s_delay_alu instid0(VALU_DEP_1) | instskip(SKIP_3) | instid1(VALU_DEP_3)
	v_div_fmas_f32 v25, v25, v33, v37
	s_mov_b32 vcc_lo, s2
	v_div_fmas_f32 v26, v26, v34, v38
	v_cmp_le_i32_e32 vcc_lo, s8, v0
	v_div_fixup_f32 v11, v25, v21, v11
	s_delay_alu instid0(VALU_DEP_3) | instskip(SKIP_1) | instid1(VALU_DEP_3)
	v_div_fixup_f32 v12, v26, v22, v12
	v_mul_f32_e32 v9, v13, v9
	v_mul_f32_e32 v11, v15, v11
	s_or_b32 s3, vcc_lo, s3
	s_delay_alu instid0(VALU_DEP_3)
	v_mul_f32_e32 v12, v16, v12
	global_store_b128 v[17:18], v[9:12], off
	s_and_not1_b32 exec_lo, exec_lo, s3
	s_cbranch_execnz .LBB14_2
.LBB14_3:
	s_nop 0
	s_sendmsg sendmsg(MSG_DEALLOC_VGPRS)
	s_endpgm
	.section	.rodata,"a",@progbits
	.p2align	6, 0x0
	.amdhsa_kernel _ZN4vllm18act_and_mul_kernelIf15HIP_vector_typeIfLj2EETnPFT_RKS3_EXadL_ZNS_11silu_kernelIfEES3_S5_EETnPFT0_RKS9_EXadL_ZNS_18packed_silu_kernelIS2_EES3_S5_EELb1ELb1ELb1ELb0EEEvPS3_PS4_if
		.amdhsa_group_segment_fixed_size 0
		.amdhsa_private_segment_fixed_size 0
		.amdhsa_kernarg_size 280
		.amdhsa_user_sgpr_count 15
		.amdhsa_user_sgpr_dispatch_ptr 0
		.amdhsa_user_sgpr_queue_ptr 0
		.amdhsa_user_sgpr_kernarg_segment_ptr 1
		.amdhsa_user_sgpr_dispatch_id 0
		.amdhsa_user_sgpr_private_segment_size 0
		.amdhsa_wavefront_size32 1
		.amdhsa_uses_dynamic_stack 0
		.amdhsa_enable_private_segment 0
		.amdhsa_system_sgpr_workgroup_id_x 1
		.amdhsa_system_sgpr_workgroup_id_y 0
		.amdhsa_system_sgpr_workgroup_id_z 0
		.amdhsa_system_sgpr_workgroup_info 0
		.amdhsa_system_vgpr_workitem_id 0
		.amdhsa_next_free_vgpr 43
		.amdhsa_next_free_sgpr 20
		.amdhsa_reserve_vcc 1
		.amdhsa_float_round_mode_32 0
		.amdhsa_float_round_mode_16_64 0
		.amdhsa_float_denorm_mode_32 3
		.amdhsa_float_denorm_mode_16_64 3
		.amdhsa_dx10_clamp 1
		.amdhsa_ieee_mode 1
		.amdhsa_fp16_overflow 0
		.amdhsa_workgroup_processor_mode 1
		.amdhsa_memory_ordered 1
		.amdhsa_forward_progress 0
		.amdhsa_shared_vgpr_count 0
		.amdhsa_exception_fp_ieee_invalid_op 0
		.amdhsa_exception_fp_denorm_src 0
		.amdhsa_exception_fp_ieee_div_zero 0
		.amdhsa_exception_fp_ieee_overflow 0
		.amdhsa_exception_fp_ieee_underflow 0
		.amdhsa_exception_fp_ieee_inexact 0
		.amdhsa_exception_int_div_zero 0
	.end_amdhsa_kernel
	.section	.text._ZN4vllm18act_and_mul_kernelIf15HIP_vector_typeIfLj2EETnPFT_RKS3_EXadL_ZNS_11silu_kernelIfEES3_S5_EETnPFT0_RKS9_EXadL_ZNS_18packed_silu_kernelIS2_EES3_S5_EELb1ELb1ELb1ELb0EEEvPS3_PS4_if,"axG",@progbits,_ZN4vllm18act_and_mul_kernelIf15HIP_vector_typeIfLj2EETnPFT_RKS3_EXadL_ZNS_11silu_kernelIfEES3_S5_EETnPFT0_RKS9_EXadL_ZNS_18packed_silu_kernelIS2_EES3_S5_EELb1ELb1ELb1ELb0EEEvPS3_PS4_if,comdat
.Lfunc_end14:
	.size	_ZN4vllm18act_and_mul_kernelIf15HIP_vector_typeIfLj2EETnPFT_RKS3_EXadL_ZNS_11silu_kernelIfEES3_S5_EETnPFT0_RKS9_EXadL_ZNS_18packed_silu_kernelIS2_EES3_S5_EELb1ELb1ELb1ELb0EEEvPS3_PS4_if, .Lfunc_end14-_ZN4vllm18act_and_mul_kernelIf15HIP_vector_typeIfLj2EETnPFT_RKS3_EXadL_ZNS_11silu_kernelIfEES3_S5_EETnPFT0_RKS9_EXadL_ZNS_18packed_silu_kernelIS2_EES3_S5_EELb1ELb1ELb1ELb0EEEvPS3_PS4_if
                                        ; -- End function
	.section	.AMDGPU.csdata,"",@progbits
; Kernel info:
; codeLenInByte = 1224
; NumSgprs: 22
; NumVgprs: 43
; ScratchSize: 0
; MemoryBound: 0
; FloatMode: 240
; IeeeMode: 1
; LDSByteSize: 0 bytes/workgroup (compile time only)
; SGPRBlocks: 2
; VGPRBlocks: 5
; NumSGPRsForWavesPerEU: 22
; NumVGPRsForWavesPerEU: 43
; Occupancy: 16
; WaveLimiterHint : 0
; COMPUTE_PGM_RSRC2:SCRATCH_EN: 0
; COMPUTE_PGM_RSRC2:USER_SGPR: 15
; COMPUTE_PGM_RSRC2:TRAP_HANDLER: 0
; COMPUTE_PGM_RSRC2:TGID_X_EN: 1
; COMPUTE_PGM_RSRC2:TGID_Y_EN: 0
; COMPUTE_PGM_RSRC2:TGID_Z_EN: 0
; COMPUTE_PGM_RSRC2:TIDIG_COMP_CNT: 0
	.section	.text._ZN4vllm18act_and_mul_kernelIN3c104HalfE7__half2TnPFT_RKS4_EXadL_ZNS_11silu_kernelIS2_EES4_S6_EETnPFT0_RKSA_EXadL_ZNS_18packed_silu_kernelIS3_EES4_S6_EELb1ELb1ELb1ELb0EEEvPS4_PS5_if,"axG",@progbits,_ZN4vllm18act_and_mul_kernelIN3c104HalfE7__half2TnPFT_RKS4_EXadL_ZNS_11silu_kernelIS2_EES4_S6_EETnPFT0_RKSA_EXadL_ZNS_18packed_silu_kernelIS3_EES4_S6_EELb1ELb1ELb1ELb0EEEvPS4_PS5_if,comdat
	.protected	_ZN4vllm18act_and_mul_kernelIN3c104HalfE7__half2TnPFT_RKS4_EXadL_ZNS_11silu_kernelIS2_EES4_S6_EETnPFT0_RKSA_EXadL_ZNS_18packed_silu_kernelIS3_EES4_S6_EELb1ELb1ELb1ELb0EEEvPS4_PS5_if ; -- Begin function _ZN4vllm18act_and_mul_kernelIN3c104HalfE7__half2TnPFT_RKS4_EXadL_ZNS_11silu_kernelIS2_EES4_S6_EETnPFT0_RKSA_EXadL_ZNS_18packed_silu_kernelIS3_EES4_S6_EELb1ELb1ELb1ELb0EEEvPS4_PS5_if
	.globl	_ZN4vllm18act_and_mul_kernelIN3c104HalfE7__half2TnPFT_RKS4_EXadL_ZNS_11silu_kernelIS2_EES4_S6_EETnPFT0_RKSA_EXadL_ZNS_18packed_silu_kernelIS3_EES4_S6_EELb1ELb1ELb1ELb0EEEvPS4_PS5_if
	.p2align	8
	.type	_ZN4vllm18act_and_mul_kernelIN3c104HalfE7__half2TnPFT_RKS4_EXadL_ZNS_11silu_kernelIS2_EES4_S6_EETnPFT0_RKSA_EXadL_ZNS_18packed_silu_kernelIS3_EES4_S6_EELb1ELb1ELb1ELb0EEEvPS4_PS5_if,@function
_ZN4vllm18act_and_mul_kernelIN3c104HalfE7__half2TnPFT_RKS4_EXadL_ZNS_11silu_kernelIS2_EES4_S6_EETnPFT0_RKSA_EXadL_ZNS_18packed_silu_kernelIS3_EES4_S6_EELb1ELb1ELb1ELb0EEEvPS4_PS5_if: ; @_ZN4vllm18act_and_mul_kernelIN3c104HalfE7__half2TnPFT_RKS4_EXadL_ZNS_11silu_kernelIS2_EES4_S6_EETnPFT0_RKSA_EXadL_ZNS_18packed_silu_kernelIS3_EES4_S6_EELb1ELb1ELb1ELb0EEEvPS4_PS5_if
; %bb.0:
	s_load_b64 s[2:3], s[0:1], 0x10
	s_waitcnt lgkmcnt(0)
	s_ashr_i32 s5, s2, 31
	s_delay_alu instid0(SALU_CYCLE_1) | instskip(NEXT) | instid1(SALU_CYCLE_1)
	s_lshr_b32 s4, s5, 29
	s_add_i32 s4, s2, s4
	s_delay_alu instid0(SALU_CYCLE_1)
	s_ashr_i32 s10, s4, 3
	s_mov_b32 s4, exec_lo
	v_cmpx_gt_i32_e64 s10, v0
	s_cbranch_execz .LBB15_3
; %bb.1:
	s_clause 0x1
	s_load_b32 s11, s[0:1], 0x24
	s_load_b128 s[16:19], s[0:1], 0x0
	s_mul_i32 s0, s15, s2
	s_mov_b32 s7, 0
	s_lshl_b32 s6, s0, 1
	v_lshlrev_b32_e32 v5, 4, v0
	s_lshl_b64 s[8:9], s[6:7], 1
	s_mov_b32 s4, s2
	s_xor_b32 s2, s3, 0x80000000
	s_mov_b32 s1, s7
	s_mov_b32 s13, s3
	;; [unrolled: 1-line block ×3, first 2 shown]
	v_max_f32_e64 v7, s13, s13
	v_max_f32_e64 v8, s3, s3
	;; [unrolled: 1-line block ×4, first 2 shown]
	s_mov_b32 s13, 0xbfb8aa3b
	s_mov_b32 s14, 0xb2a5705f
	s_waitcnt lgkmcnt(0)
	s_and_b32 s11, s11, 0xffff
	s_add_u32 s6, s18, s8
	s_addc_u32 s8, s19, s9
	v_add_co_u32 v1, s6, s6, v5
	s_lshl_b64 s[0:1], s[0:1], 1
	s_lshl_b32 s12, s11, 4
	s_lshl_b64 s[4:5], s[4:5], 1
	v_add_co_ci_u32_e64 v2, null, s8, 0, s6
	s_add_u32 s0, s16, s0
	s_addc_u32 s1, s17, s1
	v_add_co_u32 v3, vcc_lo, v1, s4
	v_add_co_u32 v5, s0, s0, v5
	v_add_co_ci_u32_e32 v4, vcc_lo, s5, v2, vcc_lo
	v_add_co_ci_u32_e64 v6, null, s1, 0, s0
	s_mov_b64 s[8:9], 0
.LBB15_2:                               ; =>This Inner Loop Header: Depth=1
	s_delay_alu instid0(SALU_CYCLE_1)
	v_add_co_u32 v11, vcc_lo, v1, s8
	v_add_co_ci_u32_e32 v12, vcc_lo, s9, v2, vcc_lo
	v_add_co_u32 v15, vcc_lo, v3, s8
	v_add_co_ci_u32_e32 v16, vcc_lo, s9, v4, vcc_lo
	v_add_co_u32 v19, vcc_lo, v5, s8
	s_clause 0x1
	global_load_b128 v[11:14], v[11:12], off
	global_load_b128 v[15:18], v[15:16], off
	v_add_co_ci_u32_e32 v20, vcc_lo, s9, v6, vcc_lo
	s_add_u32 s8, s8, s12
	s_addc_u32 s9, s9, 0
	s_waitcnt vmcnt(1)
	v_lshrrev_b32_e32 v21, 16, v11
	v_lshrrev_b32_e32 v23, 16, v12
	v_cvt_f32_f16_e32 v12, v12
	v_cvt_f32_f16_e32 v11, v11
	v_add_nc_u32_e32 v0, s11, v0
	v_cvt_f32_f16_e32 v21, v21
	s_waitcnt vmcnt(0)
	v_lshrrev_b32_e32 v22, 16, v15
	v_min_f32_e32 v12, v12, v7
	v_lshrrev_b32_e32 v25, 16, v13
	v_cvt_f32_f16_e32 v13, v13
	v_min_f32_e32 v21, v21, v8
	v_min_f32_e32 v11, v11, v7
	v_cvt_f16_f32_e32 v12, v12
	v_cvt_f32_f16_e32 v15, v15
	v_cvt_f32_f16_e32 v22, v22
	v_lshrrev_b32_e32 v26, 16, v17
	v_cvt_f16_f32_e32 v11, v11
	v_cvt_f32_f16_e32 v30, v12
	v_min_f32_e32 v13, v13, v7
	v_lshrrev_b32_e32 v27, 16, v14
	v_cvt_f32_f16_e32 v14, v14
	v_minmax_f32 v15, v15, v7, v10
	v_mul_f32_e32 v34, 0xbfb8aa3b, v30
	v_minmax_f32 v22, v22, v8, v9
	v_cvt_f16_f32_e32 v13, v13
	v_cvt_f32_f16_e32 v29, v11
	v_cvt_f32_f16_e32 v17, v17
	v_fma_mix_f32 v42, v12, s13, -v34 op_sel_hi:[1,0,0]
	v_rndne_f32_e32 v43, v34
	v_cvt_f32_f16_e32 v23, v23
	v_cvt_f32_f16_e32 v26, v26
	;; [unrolled: 1-line block ×3, first 2 shown]
	v_min_f32_e32 v14, v14, v7
	v_cvt_f16_f32_e32 v15, v15
	v_min_f32_e32 v23, v23, v8
	v_cvt_f16_f32_e32 v22, v22
	v_cvt_f16_f32_e32 v21, v21
	v_cvt_f32_f16_e32 v31, v13
	v_dual_mul_f32 v33, 0xbfb8aa3b, v29 :: v_dual_sub_f32 v34, v34, v43
	v_fma_mix_f32 v12, v12, s14, v42 op_sel_hi:[1,0,0]
	v_minmax_f32 v17, v17, v7, v10
	v_minmax_f32 v26, v26, v8, v9
	v_cvt_f16_f32_e32 v14, v14
	v_pack_b32_f16 v15, v15, v22
	v_cvt_f32_f16_e32 v22, v21
	v_min_f32_e32 v25, v25, v8
	v_dual_mul_f32 v35, 0xbfb8aa3b, v31 :: v_dual_add_f32 v12, v34, v12
	v_cvt_f32_f16_e32 v27, v27
	v_cvt_f16_f32_e32 v17, v17
	v_cvt_f16_f32_e32 v26, v26
	v_cvt_f32_f16_e32 v32, v14
	v_mul_f32_e32 v38, 0xbfb8aa3b, v22
	v_cvt_f16_f32_e32 v25, v25
	v_exp_f32_e32 v12, v12
	v_pack_b32_f16 v17, v17, v26
	v_cvt_i32_f32_e32 v42, v43
	v_rndne_f32_e32 v51, v38
	v_cvt_f32_f16_e32 v26, v25
	v_min_f32_e32 v27, v27, v8
	v_mul_f32_e32 v37, 0xbfb8aa3b, v32
	v_fma_mix_f32 v45, v13, s13, -v35 op_sel_hi:[1,0,0]
	v_rndne_f32_e32 v46, v35
	v_mul_f32_e32 v44, 0xbfb8aa3b, v26
	v_cvt_f16_f32_e32 v27, v27
	v_fma_mix_f32 v50, v21, s13, -v38 op_sel_hi:[1,0,0]
	v_sub_f32_e32 v38, v38, v51
	v_fma_mix_f32 v48, v14, s13, -v37 op_sel_hi:[1,0,0]
	v_rndne_f32_e32 v49, v37
	v_ldexp_f32 v12, v12, v42
	v_cmp_nlt_f32_e32 vcc_lo, 0x42ce8ed0, v30
	v_cvt_f32_f16_e32 v36, v27
	v_fma_mix_f32 v13, v13, s14, v45 op_sel_hi:[1,0,0]
	v_sub_f32_e32 v35, v35, v46
	v_fma_mix_f32 v14, v14, s14, v48 op_sel_hi:[1,0,0]
	v_cndmask_b32_e32 v12, 0, v12, vcc_lo
	v_cmp_ngt_f32_e32 vcc_lo, 0xc2b17218, v30
	v_sub_f32_e32 v37, v37, v49
	v_fma_mix_f32 v21, v21, s14, v50 op_sel_hi:[1,0,0]
	v_add_f32_e32 v13, v35, v13
	v_cvt_i32_f32_e32 v45, v46
	v_cndmask_b32_e32 v12, 0x7f800000, v12, vcc_lo
	v_dual_mul_f32 v47, 0xbfb8aa3b, v36 :: v_dual_add_f32 v14, v37, v14
	v_add_f32_e32 v21, v38, v21
	v_exp_f32_e32 v13, v13
	v_cvt_i32_f32_e32 v48, v49
	v_lshrrev_b32_e32 v24, 16, v16
	v_exp_f32_e32 v14, v14
	v_exp_f32_e32 v21, v21
	v_cvt_i32_f32_e32 v49, v51
	v_cmp_nlt_f32_e64 s0, 0x42ce8ed0, v31
	v_cmp_nlt_f32_e64 s1, 0x42ce8ed0, v32
	v_cvt_f32_f16_e32 v16, v16
	v_cvt_f32_f16_e32 v24, v24
	v_ldexp_f32 v13, v13, v45
	v_cmp_nlt_f32_e64 s6, 0x42ce8ed0, v22
	v_cvt_f16_f32_e32 v23, v23
	v_ldexp_f32 v14, v14, v48
	v_ldexp_f32 v21, v21, v49
	v_cndmask_b32_e64 v13, 0, v13, s0
	v_cmp_ngt_f32_e64 s0, 0xc2b17218, v31
	v_minmax_f32 v16, v16, v7, v10
	v_cndmask_b32_e64 v14, 0, v14, s1
	v_cmp_ngt_f32_e64 s1, 0xc2b17218, v32
	v_minmax_f32 v24, v24, v8, v9
	v_cndmask_b32_e64 v21, 0, v21, s6
	v_cndmask_b32_e64 v13, 0x7f800000, v13, s0
	v_cvt_f16_f32_e32 v16, v16
	v_cndmask_b32_e64 v14, 0x7f800000, v14, s1
	v_cmp_ngt_f32_e64 s1, 0xc2b17218, v22
	v_cvt_f16_f32_e32 v24, v24
	v_fma_mix_f32 v39, v11, s13, -v33 op_sel_hi:[1,0,0]
	v_rndne_f32_e32 v40, v33
	v_add_f32_e32 v13, 1.0, v13
	v_cndmask_b32_e64 v21, 0x7f800000, v21, s1
	v_pack_b32_f16 v16, v16, v24
	v_cvt_f32_f16_e32 v24, v23
	v_fma_mix_f32 v11, v11, s14, v39 op_sel_hi:[1,0,0]
	v_dual_sub_f32 v33, v33, v40 :: v_dual_add_f32 v14, 1.0, v14
	v_add_f32_e32 v21, 1.0, v21
	v_div_scale_f32 v38, null, v13, v13, v31
	v_fma_mix_f32 v43, v25, s13, -v44 op_sel_hi:[1,0,0]
	v_rndne_f32_e32 v53, v44
	v_mul_f32_e32 v41, 0xbfb8aa3b, v24
	v_rndne_f32_e32 v54, v47
	v_dual_add_f32 v11, v33, v11 :: v_dual_add_f32 v12, 1.0, v12
	v_div_scale_f32 v42, null, v21, v21, v22
	v_rcp_f32_e32 v50, v38
	v_cvt_i32_f32_e32 v39, v40
	v_fma_mix_f32 v25, v25, s14, v43 op_sel_hi:[1,0,0]
	v_sub_f32_e32 v34, v44, v53
	v_fma_mix_f32 v40, v23, s13, -v41 op_sel_hi:[1,0,0]
	v_rndne_f32_e32 v52, v41
	v_cvt_i32_f32_e32 v43, v54
	v_div_scale_f32 v37, s1, v30, v12, v30
	v_sub_f32_e32 v35, v47, v54
	v_rcp_f32_e32 v54, v42
	v_fma_mix_f32 v23, v23, s14, v40 op_sel_hi:[1,0,0]
	v_fma_f32 v60, -v38, v50, 1.0
	v_sub_f32_e32 v33, v41, v52
	v_cvt_i32_f32_e32 v40, v52
	v_cvt_i32_f32_e32 v41, v53
	v_fma_mix_f32 v46, v27, s13, -v47 op_sel_hi:[1,0,0]
	v_fmac_f32_e32 v50, v60, v50
	v_cmp_nlt_f32_e64 s3, 0x42ce8ed0, v24
	v_cmp_nlt_f32_e64 s5, 0x42ce8ed0, v36
	v_fma_f32 v62, -v42, v54, 1.0
	v_add_f32_e32 v23, v33, v23
	v_fma_mix_f32 v27, v27, s14, v46 op_sel_hi:[1,0,0]
	v_cmp_ngt_f32_e64 s0, 0xc2b17218, v36
	v_exp_f32_e32 v11, v11
	v_fmac_f32_e32 v54, v62, v54
	v_exp_f32_e32 v23, v23
	v_add_f32_e32 v25, v34, v25
	v_cmp_nlt_f32_e64 s2, 0x42ce8ed0, v29
	v_cmp_nlt_f32_e64 s4, 0x42ce8ed0, v26
	v_cmp_ngt_f32_e32 vcc_lo, 0xc2b17218, v26
	v_lshrrev_b32_e32 v28, 16, v18
	v_exp_f32_e32 v25, v25
	v_cvt_f32_f16_e32 v18, v18
	v_ldexp_f32 v11, v11, v39
	s_delay_alu instid0(TRANS32_DEP_2) | instskip(SKIP_1) | instid1(VALU_DEP_3)
	v_ldexp_f32 v23, v23, v40
	v_div_scale_f32 v40, null, v14, v14, v32
	v_cndmask_b32_e64 v11, 0, v11, s2
	v_cmp_ngt_f32_e64 s2, 0xc2b17218, v29
	s_delay_alu instid0(VALU_DEP_4) | instskip(NEXT) | instid1(VALU_DEP_4)
	v_cndmask_b32_e64 v23, 0, v23, s3
	v_rcp_f32_e32 v53, v40
	s_delay_alu instid0(TRANS32_DEP_2) | instskip(SKIP_3) | instid1(VALU_DEP_4)
	v_ldexp_f32 v25, v25, v41
	v_div_scale_f32 v41, s3, v32, v14, v32
	v_cndmask_b32_e64 v11, 0x7f800000, v11, s2
	v_cmp_ngt_f32_e64 s2, 0xc2b17218, v24
	v_cndmask_b32_e64 v25, 0, v25, s4
	v_cvt_f32_f16_e32 v28, v28
	v_minmax_f32 v18, v18, v7, v10
	s_delay_alu instid0(TRANS32_DEP_1) | instskip(SKIP_1) | instid1(VALU_DEP_4)
	v_fma_f32 v61, -v40, v53, 1.0
	v_cndmask_b32_e64 v23, 0x7f800000, v23, s2
	v_minmax_f32 v28, v28, v8, v9
	s_delay_alu instid0(VALU_DEP_4) | instskip(NEXT) | instid1(VALU_DEP_4)
	v_cvt_f16_f32_e32 v18, v18
	v_fmac_f32_e32 v53, v61, v53
	v_add_f32_e32 v27, v35, v27
	v_div_scale_f32 v35, null, v12, v12, v30
	v_cvt_f16_f32_e32 v28, v28
	s_delay_alu instid0(VALU_DEP_3) | instskip(NEXT) | instid1(VALU_DEP_2)
	v_exp_f32_e32 v27, v27
	v_rcp_f32_e32 v47, v35
	s_delay_alu instid0(VALU_DEP_1) | instskip(SKIP_3) | instid1(VALU_DEP_2)
	v_pack_b32_f16 v18, v18, v28
	s_waitcnt_depctr 0xfff
	v_ldexp_f32 v27, v27, v43
	v_fma_f32 v59, -v35, v47, 1.0
	v_cndmask_b32_e64 v27, 0, v27, s5
	s_delay_alu instid0(VALU_DEP_2) | instskip(NEXT) | instid1(VALU_DEP_2)
	v_fmac_f32_e32 v47, v59, v47
	v_cndmask_b32_e64 v27, 0x7f800000, v27, s0
	s_delay_alu instid0(VALU_DEP_1) | instskip(NEXT) | instid1(VALU_DEP_1)
	v_add_f32_e32 v27, 1.0, v27
	v_div_scale_f32 v51, null, v27, v27, v36
	s_delay_alu instid0(VALU_DEP_1) | instskip(SKIP_2) | instid1(VALU_DEP_1)
	v_rcp_f32_e32 v57, v51
	s_waitcnt_depctr 0xfff
	v_fma_f32 v60, -v51, v57, 1.0
	v_fmac_f32_e32 v57, v60, v57
	v_mul_f32_e32 v60, v41, v53
	s_delay_alu instid0(VALU_DEP_1) | instskip(NEXT) | instid1(VALU_DEP_1)
	v_fma_f32 v69, -v40, v60, v41
	v_fmac_f32_e32 v60, v69, v53
	v_div_scale_f32 v52, s6, v36, v27, v36
	s_delay_alu instid0(VALU_DEP_1) | instskip(NEXT) | instid1(VALU_DEP_1)
	v_dual_add_f32 v23, 1.0, v23 :: v_dual_mul_f32 v68, v52, v57
	v_div_scale_f32 v46, s4, v24, v23, v24
	v_cndmask_b32_e32 v25, 0x7f800000, v25, vcc_lo
	v_div_scale_f32 v45, null, v23, v23, v24
	v_div_scale_f32 v43, vcc_lo, v22, v21, v22
	s_delay_alu instid0(VALU_DEP_3) | instskip(NEXT) | instid1(VALU_DEP_3)
	v_add_f32_e32 v25, 1.0, v25
	v_rcp_f32_e32 v55, v45
	s_delay_alu instid0(VALU_DEP_2) | instskip(NEXT) | instid1(VALU_DEP_2)
	v_mul_f32_e32 v62, v43, v54
	v_div_scale_f32 v48, null, v25, v25, v26
	v_div_scale_f32 v49, s5, v26, v25, v26
	s_delay_alu instid0(VALU_DEP_3) | instskip(NEXT) | instid1(VALU_DEP_3)
	v_fma_f32 v70, -v42, v62, v43
	v_rcp_f32_e32 v56, v48
	s_delay_alu instid0(VALU_DEP_1) | instskip(SKIP_2) | instid1(VALU_DEP_1)
	v_fmac_f32_e32 v62, v70, v54
	s_waitcnt_depctr 0xfff
	v_fma_f32 v59, -v48, v56, 1.0
	v_dual_fmac_f32 v56, v59, v56 :: v_dual_add_f32 v11, 1.0, v11
	s_delay_alu instid0(VALU_DEP_1) | instskip(NEXT) | instid1(VALU_DEP_2)
	v_mul_f32_e32 v66, v49, v56
	v_div_scale_f32 v33, null, v11, v11, v29
	v_div_scale_f32 v34, s0, v29, v11, v29
	s_delay_alu instid0(VALU_DEP_2) | instskip(SKIP_2) | instid1(VALU_DEP_1)
	v_rcp_f32_e32 v44, v33
	s_waitcnt_depctr 0xfff
	v_fma_f32 v58, -v33, v44, 1.0
	v_fmac_f32_e32 v44, v58, v44
	v_fma_f32 v58, -v45, v55, 1.0
	s_delay_alu instid0(VALU_DEP_1) | instskip(SKIP_1) | instid1(VALU_DEP_2)
	v_fmac_f32_e32 v55, v58, v55
	v_mul_f32_e32 v58, v37, v47
	v_mul_f32_e32 v64, v46, v55
	s_delay_alu instid0(VALU_DEP_2) | instskip(NEXT) | instid1(VALU_DEP_1)
	v_fma_f32 v65, -v35, v58, v37
	v_fmac_f32_e32 v58, v65, v47
	v_div_scale_f32 v39, s2, v31, v13, v31
	v_fma_f32 v65, -v48, v66, v49
	s_delay_alu instid0(VALU_DEP_1) | instskip(NEXT) | instid1(VALU_DEP_1)
	v_dual_mul_f32 v59, v39, v50 :: v_dual_fmac_f32 v66, v65, v56
	v_fma_f32 v67, -v38, v59, v39
	s_delay_alu instid0(VALU_DEP_1) | instskip(SKIP_1) | instid1(VALU_DEP_1)
	v_fmac_f32_e32 v59, v67, v50
	v_fma_f32 v67, -v51, v68, v52
	v_dual_mul_f32 v61, v34, v44 :: v_dual_fmac_f32 v68, v67, v57
	s_delay_alu instid0(VALU_DEP_1) | instskip(NEXT) | instid1(VALU_DEP_1)
	v_fma_f32 v63, -v33, v61, v34
	v_fmac_f32_e32 v61, v63, v44
	v_fma_f32 v63, -v45, v64, v46
	s_delay_alu instid0(VALU_DEP_2) | instskip(NEXT) | instid1(VALU_DEP_2)
	v_fma_f32 v33, -v33, v61, v34
	v_fmac_f32_e32 v64, v63, v55
	v_fma_f32 v34, -v35, v58, v37
	v_fma_f32 v35, -v38, v59, v39
	;; [unrolled: 1-line block ×7, first 2 shown]
	v_div_fmas_f32 v38, v38, v54, v62
	s_mov_b32 vcc_lo, s0
	v_div_fmas_f32 v33, v33, v44, v61
	s_mov_b32 vcc_lo, s4
	s_delay_alu instid0(VALU_DEP_2)
	v_div_fixup_f32 v21, v38, v21, v22
	v_div_fmas_f32 v39, v39, v55, v64
	s_mov_b32 vcc_lo, s1
	v_div_fixup_f32 v11, v33, v11, v29
	v_div_fmas_f32 v22, v34, v47, v58
	s_mov_b32 vcc_lo, s5
	v_div_fixup_f32 v23, v39, v23, v24
	v_div_fmas_f32 v29, v40, v56, v66
	s_mov_b32 vcc_lo, s2
	v_div_fixup_f32 v12, v22, v12, v30
	v_div_fmas_f32 v24, v35, v50, v59
	s_mov_b32 vcc_lo, s6
	v_div_fixup_f32 v25, v29, v25, v26
	v_div_fmas_f32 v22, v41, v57, v68
	s_mov_b32 vcc_lo, s3
	v_div_fixup_f32 v13, v24, v13, v31
	v_div_fmas_f32 v30, v37, v53, v60
	v_cvt_f16_f32_e32 v21, v21
	v_div_fixup_f32 v22, v22, v27, v36
	v_cvt_f16_f32_e32 v11, v11
	v_cvt_f16_f32_e32 v23, v23
	v_div_fixup_f32 v14, v30, v14, v32
	v_cvt_f16_f32_e32 v12, v12
	v_cvt_f16_f32_e32 v24, v25
	v_cvt_f16_f32_e32 v13, v13
	v_cvt_f16_f32_e32 v22, v22
	v_cvt_f16_f32_e32 v14, v14
	v_pack_b32_f16 v11, v11, v21
	v_pack_b32_f16 v12, v12, v23
	;; [unrolled: 1-line block ×3, first 2 shown]
	v_cmp_le_i32_e32 vcc_lo, s10, v0
	v_pack_b32_f16 v14, v14, v22
	v_pk_mul_f16 v11, v15, v11
	v_pk_mul_f16 v12, v16, v12
	;; [unrolled: 1-line block ×3, first 2 shown]
	s_or_b32 s7, vcc_lo, s7
	v_pk_mul_f16 v14, v18, v14
	global_store_b128 v[19:20], v[11:14], off
	s_and_not1_b32 exec_lo, exec_lo, s7
	s_cbranch_execnz .LBB15_2
.LBB15_3:
	s_nop 0
	s_sendmsg sendmsg(MSG_DEALLOC_VGPRS)
	s_endpgm
	.section	.rodata,"a",@progbits
	.p2align	6, 0x0
	.amdhsa_kernel _ZN4vllm18act_and_mul_kernelIN3c104HalfE7__half2TnPFT_RKS4_EXadL_ZNS_11silu_kernelIS2_EES4_S6_EETnPFT0_RKSA_EXadL_ZNS_18packed_silu_kernelIS3_EES4_S6_EELb1ELb1ELb1ELb0EEEvPS4_PS5_if
		.amdhsa_group_segment_fixed_size 0
		.amdhsa_private_segment_fixed_size 0
		.amdhsa_kernarg_size 280
		.amdhsa_user_sgpr_count 15
		.amdhsa_user_sgpr_dispatch_ptr 0
		.amdhsa_user_sgpr_queue_ptr 0
		.amdhsa_user_sgpr_kernarg_segment_ptr 1
		.amdhsa_user_sgpr_dispatch_id 0
		.amdhsa_user_sgpr_private_segment_size 0
		.amdhsa_wavefront_size32 1
		.amdhsa_uses_dynamic_stack 0
		.amdhsa_enable_private_segment 0
		.amdhsa_system_sgpr_workgroup_id_x 1
		.amdhsa_system_sgpr_workgroup_id_y 0
		.amdhsa_system_sgpr_workgroup_id_z 0
		.amdhsa_system_sgpr_workgroup_info 0
		.amdhsa_system_vgpr_workitem_id 0
		.amdhsa_next_free_vgpr 71
		.amdhsa_next_free_sgpr 20
		.amdhsa_reserve_vcc 1
		.amdhsa_float_round_mode_32 0
		.amdhsa_float_round_mode_16_64 0
		.amdhsa_float_denorm_mode_32 3
		.amdhsa_float_denorm_mode_16_64 3
		.amdhsa_dx10_clamp 1
		.amdhsa_ieee_mode 1
		.amdhsa_fp16_overflow 0
		.amdhsa_workgroup_processor_mode 1
		.amdhsa_memory_ordered 1
		.amdhsa_forward_progress 0
		.amdhsa_shared_vgpr_count 0
		.amdhsa_exception_fp_ieee_invalid_op 0
		.amdhsa_exception_fp_denorm_src 0
		.amdhsa_exception_fp_ieee_div_zero 0
		.amdhsa_exception_fp_ieee_overflow 0
		.amdhsa_exception_fp_ieee_underflow 0
		.amdhsa_exception_fp_ieee_inexact 0
		.amdhsa_exception_int_div_zero 0
	.end_amdhsa_kernel
	.section	.text._ZN4vllm18act_and_mul_kernelIN3c104HalfE7__half2TnPFT_RKS4_EXadL_ZNS_11silu_kernelIS2_EES4_S6_EETnPFT0_RKSA_EXadL_ZNS_18packed_silu_kernelIS3_EES4_S6_EELb1ELb1ELb1ELb0EEEvPS4_PS5_if,"axG",@progbits,_ZN4vllm18act_and_mul_kernelIN3c104HalfE7__half2TnPFT_RKS4_EXadL_ZNS_11silu_kernelIS2_EES4_S6_EETnPFT0_RKSA_EXadL_ZNS_18packed_silu_kernelIS3_EES4_S6_EELb1ELb1ELb1ELb0EEEvPS4_PS5_if,comdat
.Lfunc_end15:
	.size	_ZN4vllm18act_and_mul_kernelIN3c104HalfE7__half2TnPFT_RKS4_EXadL_ZNS_11silu_kernelIS2_EES4_S6_EETnPFT0_RKSA_EXadL_ZNS_18packed_silu_kernelIS3_EES4_S6_EELb1ELb1ELb1ELb0EEEvPS4_PS5_if, .Lfunc_end15-_ZN4vllm18act_and_mul_kernelIN3c104HalfE7__half2TnPFT_RKS4_EXadL_ZNS_11silu_kernelIS2_EES4_S6_EETnPFT0_RKSA_EXadL_ZNS_18packed_silu_kernelIS3_EES4_S6_EELb1ELb1ELb1ELb0EEEvPS4_PS5_if
                                        ; -- End function
	.section	.AMDGPU.csdata,"",@progbits
; Kernel info:
; codeLenInByte = 2280
; NumSgprs: 22
; NumVgprs: 71
; ScratchSize: 0
; MemoryBound: 0
; FloatMode: 240
; IeeeMode: 1
; LDSByteSize: 0 bytes/workgroup (compile time only)
; SGPRBlocks: 2
; VGPRBlocks: 8
; NumSGPRsForWavesPerEU: 22
; NumVGPRsForWavesPerEU: 71
; Occupancy: 16
; WaveLimiterHint : 0
; COMPUTE_PGM_RSRC2:SCRATCH_EN: 0
; COMPUTE_PGM_RSRC2:USER_SGPR: 15
; COMPUTE_PGM_RSRC2:TRAP_HANDLER: 0
; COMPUTE_PGM_RSRC2:TGID_X_EN: 1
; COMPUTE_PGM_RSRC2:TGID_Y_EN: 0
; COMPUTE_PGM_RSRC2:TGID_Z_EN: 0
; COMPUTE_PGM_RSRC2:TIDIG_COMP_CNT: 0
	.section	.text._ZN4vllm18act_and_mul_kernelIN3c108BFloat16E15__hip_bfloat162TnPFT_RKS4_EXadL_ZNS_11silu_kernelIS2_EES4_S6_EETnPFT0_RKSA_EXadL_ZNS_18packed_silu_kernelIS3_EES4_S6_EELb1ELb1ELb1ELb0EEEvPS4_PS5_if,"axG",@progbits,_ZN4vllm18act_and_mul_kernelIN3c108BFloat16E15__hip_bfloat162TnPFT_RKS4_EXadL_ZNS_11silu_kernelIS2_EES4_S6_EETnPFT0_RKSA_EXadL_ZNS_18packed_silu_kernelIS3_EES4_S6_EELb1ELb1ELb1ELb0EEEvPS4_PS5_if,comdat
	.protected	_ZN4vllm18act_and_mul_kernelIN3c108BFloat16E15__hip_bfloat162TnPFT_RKS4_EXadL_ZNS_11silu_kernelIS2_EES4_S6_EETnPFT0_RKSA_EXadL_ZNS_18packed_silu_kernelIS3_EES4_S6_EELb1ELb1ELb1ELb0EEEvPS4_PS5_if ; -- Begin function _ZN4vllm18act_and_mul_kernelIN3c108BFloat16E15__hip_bfloat162TnPFT_RKS4_EXadL_ZNS_11silu_kernelIS2_EES4_S6_EETnPFT0_RKSA_EXadL_ZNS_18packed_silu_kernelIS3_EES4_S6_EELb1ELb1ELb1ELb0EEEvPS4_PS5_if
	.globl	_ZN4vllm18act_and_mul_kernelIN3c108BFloat16E15__hip_bfloat162TnPFT_RKS4_EXadL_ZNS_11silu_kernelIS2_EES4_S6_EETnPFT0_RKSA_EXadL_ZNS_18packed_silu_kernelIS3_EES4_S6_EELb1ELb1ELb1ELb0EEEvPS4_PS5_if
	.p2align	8
	.type	_ZN4vllm18act_and_mul_kernelIN3c108BFloat16E15__hip_bfloat162TnPFT_RKS4_EXadL_ZNS_11silu_kernelIS2_EES4_S6_EETnPFT0_RKSA_EXadL_ZNS_18packed_silu_kernelIS3_EES4_S6_EELb1ELb1ELb1ELb0EEEvPS4_PS5_if,@function
_ZN4vllm18act_and_mul_kernelIN3c108BFloat16E15__hip_bfloat162TnPFT_RKS4_EXadL_ZNS_11silu_kernelIS2_EES4_S6_EETnPFT0_RKSA_EXadL_ZNS_18packed_silu_kernelIS3_EES4_S6_EELb1ELb1ELb1ELb0EEEvPS4_PS5_if: ; @_ZN4vllm18act_and_mul_kernelIN3c108BFloat16E15__hip_bfloat162TnPFT_RKS4_EXadL_ZNS_11silu_kernelIS2_EES4_S6_EETnPFT0_RKSA_EXadL_ZNS_18packed_silu_kernelIS3_EES4_S6_EELb1ELb1ELb1ELb0EEEvPS4_PS5_if
; %bb.0:
	s_load_b64 s[2:3], s[0:1], 0x10
	s_waitcnt lgkmcnt(0)
	s_ashr_i32 s5, s2, 31
	s_delay_alu instid0(SALU_CYCLE_1) | instskip(NEXT) | instid1(SALU_CYCLE_1)
	s_lshr_b32 s4, s5, 29
	s_add_i32 s4, s2, s4
	s_delay_alu instid0(SALU_CYCLE_1)
	s_ashr_i32 s6, s4, 3
	s_mov_b32 s4, exec_lo
	v_cmpx_gt_i32_e64 s6, v0
	s_cbranch_execz .LBB16_131
; %bb.1:
	s_clause 0x1
	s_load_b32 s7, s[0:1], 0x24
	s_load_b128 s[16:19], s[0:1], 0x0
	s_mul_i32 s10, s15, s2
	s_mov_b32 s1, 0
	s_lshl_b32 s0, s10, 1
	v_lshlrev_b32_e32 v1, 4, v0
	s_lshl_b64 s[8:9], s[0:1], 1
	s_mov_b32 s11, s1
	s_mov_b32 s4, s2
	v_max_f32_e64 v9, s3, s3
	v_max_f32_e64 v16, -s3, -s3
	s_waitcnt lgkmcnt(0)
	s_and_b32 s7, s7, 0xffff
	s_add_u32 s0, s18, s8
	s_addc_u32 s2, s19, s9
	v_add_co_u32 v10, s0, s0, v1
	s_lshl_b64 s[10:11], s[10:11], 1
	s_lshl_b32 s8, s7, 4
	s_lshl_b64 s[4:5], s[4:5], 1
	v_add_co_ci_u32_e64 v11, null, s2, 0, s0
	s_add_u32 s0, s16, s10
	s_addc_u32 s2, s17, s11
	v_add_co_u32 v12, s0, s0, v1
	v_add_co_u32 v14, vcc_lo, v10, s4
	v_add_co_ci_u32_e64 v13, null, s2, 0, s0
	v_add_co_ci_u32_e32 v15, vcc_lo, s5, v11, vcc_lo
	s_mov_b64 s[2:3], 0
	s_branch .LBB16_3
.LBB16_2:                               ;   in Loop: Header=BB16_3 Depth=1
	s_or_b32 exec_lo, exec_lo, s0
	v_add_nc_u32_e32 v0, s7, v0
	v_perm_b32 v1, v5, v1, 0x7060302
	v_add_co_u32 v5, s0, v12, s2
	v_perm_b32 v4, v4, v8, 0x7060302
	s_delay_alu instid0(VALU_DEP_4)
	v_cmp_le_i32_e32 vcc_lo, s6, v0
	v_perm_b32 v3, v7, v3, 0x7060302
	v_perm_b32 v2, v6, v2, 0x7060302
	v_add_co_ci_u32_e64 v6, s0, s3, v13, s0
	s_add_u32 s2, s2, s8
	s_addc_u32 s3, s3, 0
	s_or_b32 s1, vcc_lo, s1
	global_store_b128 v[5:6], v[1:4], off
	s_and_not1_b32 exec_lo, exec_lo, s1
	s_cbranch_execz .LBB16_131
.LBB16_3:                               ; =>This Inner Loop Header: Depth=1
	v_add_co_u32 v1, vcc_lo, v10, s2
	v_add_co_ci_u32_e32 v2, vcc_lo, s3, v11, vcc_lo
	s_mov_b32 s0, exec_lo
                                        ; implicit-def: $vgpr19
	global_load_b128 v[5:8], v[1:2], off
	v_add_co_u32 v1, vcc_lo, v14, s2
	v_add_co_ci_u32_e32 v2, vcc_lo, s3, v15, vcc_lo
	global_load_b128 v[1:4], v[1:2], off
	s_waitcnt vmcnt(1)
	v_lshlrev_b32_e32 v17, 16, v5
	s_delay_alu instid0(VALU_DEP_1) | instskip(NEXT) | instid1(VALU_DEP_1)
	v_max_f32_e32 v17, v17, v17
	v_min_f32_e32 v17, v17, v9
	s_delay_alu instid0(VALU_DEP_1) | instskip(NEXT) | instid1(VALU_DEP_1)
	v_and_b32_e32 v18, 0x7f800000, v17
	v_cmpx_ne_u32_e32 0x7f800000, v18
	s_xor_b32 s0, exec_lo, s0
; %bb.4:                                ;   in Loop: Header=BB16_3 Depth=1
	v_bfe_u32 v18, v17, 16, 1
	s_delay_alu instid0(VALU_DEP_1)
	v_add3_u32 v19, v17, v18, 0x7fff
                                        ; implicit-def: $vgpr17
; %bb.5:                                ;   in Loop: Header=BB16_3 Depth=1
	s_and_not1_saveexec_b32 s0, s0
; %bb.6:                                ;   in Loop: Header=BB16_3 Depth=1
	v_and_b32_e32 v18, 0xffff, v17
	v_or_b32_e32 v19, 0x10000, v17
	s_delay_alu instid0(VALU_DEP_2) | instskip(NEXT) | instid1(VALU_DEP_2)
	v_cmp_eq_u32_e32 vcc_lo, 0, v18
	v_cndmask_b32_e32 v19, v19, v17, vcc_lo
; %bb.7:                                ;   in Loop: Header=BB16_3 Depth=1
	s_or_b32 exec_lo, exec_lo, s0
	v_and_b32_e32 v5, 0xffff0000, v5
	s_mov_b32 s0, exec_lo
                                        ; implicit-def: $vgpr18
	s_delay_alu instid0(VALU_DEP_1) | instskip(NEXT) | instid1(VALU_DEP_1)
	v_max_f32_e32 v5, v5, v5
	v_min_f32_e32 v5, v5, v9
	s_delay_alu instid0(VALU_DEP_1) | instskip(NEXT) | instid1(VALU_DEP_1)
	v_and_b32_e32 v17, 0x7f800000, v5
	v_cmpx_ne_u32_e32 0x7f800000, v17
	s_xor_b32 s0, exec_lo, s0
; %bb.8:                                ;   in Loop: Header=BB16_3 Depth=1
	v_bfe_u32 v17, v5, 16, 1
	s_delay_alu instid0(VALU_DEP_1)
	v_add3_u32 v18, v5, v17, 0x7fff
                                        ; implicit-def: $vgpr5
; %bb.9:                                ;   in Loop: Header=BB16_3 Depth=1
	s_and_not1_saveexec_b32 s0, s0
; %bb.10:                               ;   in Loop: Header=BB16_3 Depth=1
	v_and_b32_e32 v17, 0xffff, v5
	v_or_b32_e32 v18, 0x10000, v5
	s_delay_alu instid0(VALU_DEP_2) | instskip(NEXT) | instid1(VALU_DEP_2)
	v_cmp_eq_u32_e32 vcc_lo, 0, v17
	v_cndmask_b32_e32 v18, v18, v5, vcc_lo
; %bb.11:                               ;   in Loop: Header=BB16_3 Depth=1
	s_or_b32 exec_lo, exec_lo, s0
	s_waitcnt vmcnt(0)
	v_lshlrev_b32_e32 v5, 16, v1
	s_delay_alu instid0(VALU_DEP_1) | instskip(NEXT) | instid1(VALU_DEP_1)
	v_max_f32_e32 v5, v5, v5
	v_minmax_f32 v5, v5, v9, v16
	s_delay_alu instid0(VALU_DEP_1) | instskip(NEXT) | instid1(VALU_DEP_1)
	v_and_b32_e32 v17, 0x7f800000, v5
	v_cmp_ne_u32_e32 vcc_lo, 0x7f800000, v17
                                        ; implicit-def: $vgpr17
	s_and_saveexec_b32 s0, vcc_lo
	s_delay_alu instid0(SALU_CYCLE_1)
	s_xor_b32 s0, exec_lo, s0
; %bb.12:                               ;   in Loop: Header=BB16_3 Depth=1
	v_bfe_u32 v17, v5, 16, 1
	s_delay_alu instid0(VALU_DEP_1)
	v_add3_u32 v17, v5, v17, 0x7fff
                                        ; implicit-def: $vgpr5
; %bb.13:                               ;   in Loop: Header=BB16_3 Depth=1
	s_and_not1_saveexec_b32 s0, s0
; %bb.14:                               ;   in Loop: Header=BB16_3 Depth=1
	v_and_b32_e32 v17, 0xffff, v5
	v_or_b32_e32 v20, 0x10000, v5
	s_delay_alu instid0(VALU_DEP_2) | instskip(NEXT) | instid1(VALU_DEP_2)
	v_cmp_eq_u32_e32 vcc_lo, 0, v17
	v_cndmask_b32_e32 v17, v20, v5, vcc_lo
; %bb.15:                               ;   in Loop: Header=BB16_3 Depth=1
	s_or_b32 exec_lo, exec_lo, s0
	v_and_b32_e32 v1, 0xffff0000, v1
	s_delay_alu instid0(VALU_DEP_1) | instskip(NEXT) | instid1(VALU_DEP_1)
	v_max_f32_e32 v1, v1, v1
	v_minmax_f32 v1, v1, v9, v16
	s_delay_alu instid0(VALU_DEP_1) | instskip(NEXT) | instid1(VALU_DEP_1)
	v_and_b32_e32 v5, 0x7f800000, v1
	v_cmp_ne_u32_e32 vcc_lo, 0x7f800000, v5
                                        ; implicit-def: $vgpr5
	s_and_saveexec_b32 s0, vcc_lo
	s_delay_alu instid0(SALU_CYCLE_1)
	s_xor_b32 s0, exec_lo, s0
; %bb.16:                               ;   in Loop: Header=BB16_3 Depth=1
	v_bfe_u32 v5, v1, 16, 1
	s_delay_alu instid0(VALU_DEP_1)
	v_add3_u32 v5, v1, v5, 0x7fff
                                        ; implicit-def: $vgpr1
; %bb.17:                               ;   in Loop: Header=BB16_3 Depth=1
	s_and_not1_saveexec_b32 s0, s0
; %bb.18:                               ;   in Loop: Header=BB16_3 Depth=1
	v_and_b32_e32 v5, 0xffff, v1
	v_or_b32_e32 v20, 0x10000, v1
	s_delay_alu instid0(VALU_DEP_2) | instskip(NEXT) | instid1(VALU_DEP_2)
	v_cmp_eq_u32_e32 vcc_lo, 0, v5
	v_cndmask_b32_e32 v5, v20, v1, vcc_lo
; %bb.19:                               ;   in Loop: Header=BB16_3 Depth=1
	s_or_b32 exec_lo, exec_lo, s0
	v_and_b32_e32 v1, 0xffff0000, v19
	s_delay_alu instid0(VALU_DEP_1) | instskip(SKIP_1) | instid1(VALU_DEP_2)
	v_mul_f32_e32 v19, 0xbfb8aa3b, v1
	v_cmp_nlt_f32_e32 vcc_lo, 0x42ce8ed0, v1
	v_fma_f32 v20, 0xbfb8aa3b, v1, -v19
	v_rndne_f32_e32 v21, v19
	s_delay_alu instid0(VALU_DEP_2) | instskip(NEXT) | instid1(VALU_DEP_2)
	v_fmac_f32_e32 v20, 0xb2a5705f, v1
	v_sub_f32_e32 v19, v19, v21
	s_delay_alu instid0(VALU_DEP_1) | instskip(SKIP_1) | instid1(VALU_DEP_2)
	v_add_f32_e32 v19, v19, v20
	v_cvt_i32_f32_e32 v20, v21
	v_exp_f32_e32 v19, v19
	s_waitcnt_depctr 0xfff
	v_ldexp_f32 v19, v19, v20
	s_delay_alu instid0(VALU_DEP_1) | instskip(SKIP_1) | instid1(VALU_DEP_2)
	v_cndmask_b32_e32 v19, 0, v19, vcc_lo
	v_cmp_ngt_f32_e32 vcc_lo, 0xc2b17218, v1
	v_cndmask_b32_e32 v19, 0x7f800000, v19, vcc_lo
	s_delay_alu instid0(VALU_DEP_1) | instskip(NEXT) | instid1(VALU_DEP_1)
	v_add_f32_e32 v19, 1.0, v19
	v_div_scale_f32 v20, null, v19, v19, v1
	s_delay_alu instid0(VALU_DEP_1) | instskip(SKIP_2) | instid1(VALU_DEP_1)
	v_rcp_f32_e32 v21, v20
	s_waitcnt_depctr 0xfff
	v_fma_f32 v22, -v20, v21, 1.0
	v_fmac_f32_e32 v21, v22, v21
	v_div_scale_f32 v22, vcc_lo, v1, v19, v1
	s_delay_alu instid0(VALU_DEP_1) | instskip(NEXT) | instid1(VALU_DEP_1)
	v_mul_f32_e32 v23, v22, v21
	v_fma_f32 v24, -v20, v23, v22
	s_delay_alu instid0(VALU_DEP_1) | instskip(NEXT) | instid1(VALU_DEP_1)
	v_fmac_f32_e32 v23, v24, v21
	v_fma_f32 v20, -v20, v23, v22
	s_delay_alu instid0(VALU_DEP_1) | instskip(NEXT) | instid1(VALU_DEP_1)
	v_div_fmas_f32 v20, v20, v21, v23
	v_div_fixup_f32 v19, v20, v19, v1
	s_delay_alu instid0(VALU_DEP_1) | instskip(NEXT) | instid1(VALU_DEP_1)
	v_and_b32_e32 v1, 0x7f800000, v19
	v_cmp_ne_u32_e32 vcc_lo, 0x7f800000, v1
                                        ; implicit-def: $vgpr1
	s_and_saveexec_b32 s0, vcc_lo
	s_delay_alu instid0(SALU_CYCLE_1)
	s_xor_b32 s0, exec_lo, s0
; %bb.20:                               ;   in Loop: Header=BB16_3 Depth=1
	v_bfe_u32 v1, v19, 16, 1
	s_delay_alu instid0(VALU_DEP_1)
	v_add3_u32 v1, v19, v1, 0x7fff
                                        ; implicit-def: $vgpr19
; %bb.21:                               ;   in Loop: Header=BB16_3 Depth=1
	s_and_not1_saveexec_b32 s0, s0
; %bb.22:                               ;   in Loop: Header=BB16_3 Depth=1
	v_and_b32_e32 v1, 0xffff, v19
	v_or_b32_e32 v20, 0x10000, v19
	s_delay_alu instid0(VALU_DEP_2) | instskip(NEXT) | instid1(VALU_DEP_2)
	v_cmp_eq_u32_e32 vcc_lo, 0, v1
	v_cndmask_b32_e32 v1, v20, v19, vcc_lo
; %bb.23:                               ;   in Loop: Header=BB16_3 Depth=1
	s_or_b32 exec_lo, exec_lo, s0
	v_and_b32_e32 v18, 0xffff0000, v18
	s_delay_alu instid0(VALU_DEP_1) | instskip(NEXT) | instid1(VALU_DEP_1)
	v_mul_f32_e32 v19, 0xbfb8aa3b, v18
	v_fma_f32 v20, 0xbfb8aa3b, v18, -v19
	v_rndne_f32_e32 v21, v19
	s_delay_alu instid0(VALU_DEP_1) | instskip(SKIP_1) | instid1(VALU_DEP_4)
	v_sub_f32_e32 v19, v19, v21
	v_cmp_nlt_f32_e32 vcc_lo, 0x42ce8ed0, v18
	v_fmac_f32_e32 v20, 0xb2a5705f, v18
	s_delay_alu instid0(VALU_DEP_1) | instskip(SKIP_1) | instid1(VALU_DEP_2)
	v_add_f32_e32 v19, v19, v20
	v_cvt_i32_f32_e32 v20, v21
	v_exp_f32_e32 v19, v19
	s_waitcnt_depctr 0xfff
	v_ldexp_f32 v19, v19, v20
	s_delay_alu instid0(VALU_DEP_1) | instskip(SKIP_1) | instid1(VALU_DEP_2)
	v_cndmask_b32_e32 v19, 0, v19, vcc_lo
	v_cmp_ngt_f32_e32 vcc_lo, 0xc2b17218, v18
	v_cndmask_b32_e32 v19, 0x7f800000, v19, vcc_lo
	s_delay_alu instid0(VALU_DEP_1) | instskip(NEXT) | instid1(VALU_DEP_1)
	v_add_f32_e32 v19, 1.0, v19
	v_div_scale_f32 v20, null, v19, v19, v18
	s_delay_alu instid0(VALU_DEP_1) | instskip(SKIP_2) | instid1(VALU_DEP_1)
	v_rcp_f32_e32 v21, v20
	s_waitcnt_depctr 0xfff
	v_fma_f32 v22, -v20, v21, 1.0
	v_fmac_f32_e32 v21, v22, v21
	v_div_scale_f32 v22, vcc_lo, v18, v19, v18
	s_delay_alu instid0(VALU_DEP_1) | instskip(NEXT) | instid1(VALU_DEP_1)
	v_mul_f32_e32 v23, v22, v21
	v_fma_f32 v24, -v20, v23, v22
	s_delay_alu instid0(VALU_DEP_1) | instskip(NEXT) | instid1(VALU_DEP_1)
	v_fmac_f32_e32 v23, v24, v21
	v_fma_f32 v20, -v20, v23, v22
	s_delay_alu instid0(VALU_DEP_1) | instskip(NEXT) | instid1(VALU_DEP_1)
	v_div_fmas_f32 v20, v20, v21, v23
	v_div_fixup_f32 v19, v20, v19, v18
	s_delay_alu instid0(VALU_DEP_1) | instskip(NEXT) | instid1(VALU_DEP_1)
	v_and_b32_e32 v18, 0x7f800000, v19
	v_cmp_ne_u32_e32 vcc_lo, 0x7f800000, v18
                                        ; implicit-def: $vgpr18
	s_and_saveexec_b32 s0, vcc_lo
	s_delay_alu instid0(SALU_CYCLE_1)
	s_xor_b32 s0, exec_lo, s0
; %bb.24:                               ;   in Loop: Header=BB16_3 Depth=1
	v_bfe_u32 v18, v19, 16, 1
	s_delay_alu instid0(VALU_DEP_1)
	v_add3_u32 v18, v19, v18, 0x7fff
                                        ; implicit-def: $vgpr19
; %bb.25:                               ;   in Loop: Header=BB16_3 Depth=1
	s_and_not1_saveexec_b32 s0, s0
; %bb.26:                               ;   in Loop: Header=BB16_3 Depth=1
	v_and_b32_e32 v18, 0xffff, v19
	v_or_b32_e32 v20, 0x10000, v19
	s_delay_alu instid0(VALU_DEP_2) | instskip(NEXT) | instid1(VALU_DEP_2)
	v_cmp_eq_u32_e32 vcc_lo, 0, v18
	v_cndmask_b32_e32 v18, v20, v19, vcc_lo
; %bb.27:                               ;   in Loop: Header=BB16_3 Depth=1
	s_or_b32 exec_lo, exec_lo, s0
	v_and_b32_e32 v17, 0xffff0000, v17
	v_and_b32_e32 v1, 0xffff0000, v1
	s_delay_alu instid0(VALU_DEP_1) | instskip(NEXT) | instid1(VALU_DEP_1)
	v_mul_f32_e32 v17, v17, v1
	v_and_b32_e32 v1, 0x7f800000, v17
	s_delay_alu instid0(VALU_DEP_1) | instskip(SKIP_1) | instid1(SALU_CYCLE_1)
	v_cmp_ne_u32_e32 vcc_lo, 0x7f800000, v1
                                        ; implicit-def: $vgpr1
	s_and_saveexec_b32 s0, vcc_lo
	s_xor_b32 s0, exec_lo, s0
; %bb.28:                               ;   in Loop: Header=BB16_3 Depth=1
	v_bfe_u32 v1, v17, 16, 1
	s_delay_alu instid0(VALU_DEP_1)
	v_add3_u32 v1, v17, v1, 0x7fff
                                        ; implicit-def: $vgpr17
; %bb.29:                               ;   in Loop: Header=BB16_3 Depth=1
	s_and_not1_saveexec_b32 s0, s0
; %bb.30:                               ;   in Loop: Header=BB16_3 Depth=1
	v_and_b32_e32 v1, 0xffff, v17
	v_or_b32_e32 v19, 0x10000, v17
	s_delay_alu instid0(VALU_DEP_2) | instskip(NEXT) | instid1(VALU_DEP_2)
	v_cmp_eq_u32_e32 vcc_lo, 0, v1
	v_cndmask_b32_e32 v1, v19, v17, vcc_lo
; %bb.31:                               ;   in Loop: Header=BB16_3 Depth=1
	s_or_b32 exec_lo, exec_lo, s0
	v_and_b32_e32 v17, 0xffff0000, v18
	v_and_b32_e32 v5, 0xffff0000, v5
	s_delay_alu instid0(VALU_DEP_1) | instskip(NEXT) | instid1(VALU_DEP_1)
	v_mul_f32_e32 v17, v5, v17
	v_and_b32_e32 v5, 0x7f800000, v17
	s_delay_alu instid0(VALU_DEP_1) | instskip(SKIP_1) | instid1(SALU_CYCLE_1)
	v_cmp_ne_u32_e32 vcc_lo, 0x7f800000, v5
                                        ; implicit-def: $vgpr5
	s_and_saveexec_b32 s0, vcc_lo
	s_xor_b32 s0, exec_lo, s0
; %bb.32:                               ;   in Loop: Header=BB16_3 Depth=1
	v_bfe_u32 v5, v17, 16, 1
	s_delay_alu instid0(VALU_DEP_1)
	v_add3_u32 v5, v17, v5, 0x7fff
                                        ; implicit-def: $vgpr17
; %bb.33:                               ;   in Loop: Header=BB16_3 Depth=1
	s_and_not1_saveexec_b32 s0, s0
; %bb.34:                               ;   in Loop: Header=BB16_3 Depth=1
	v_and_b32_e32 v5, 0xffff, v17
	v_or_b32_e32 v18, 0x10000, v17
	s_delay_alu instid0(VALU_DEP_2) | instskip(NEXT) | instid1(VALU_DEP_2)
	v_cmp_eq_u32_e32 vcc_lo, 0, v5
	v_cndmask_b32_e32 v5, v18, v17, vcc_lo
; %bb.35:                               ;   in Loop: Header=BB16_3 Depth=1
	s_or_b32 exec_lo, exec_lo, s0
	v_lshlrev_b32_e32 v17, 16, v6
	s_mov_b32 s0, exec_lo
                                        ; implicit-def: $vgpr19
	s_delay_alu instid0(VALU_DEP_1) | instskip(NEXT) | instid1(VALU_DEP_1)
	v_max_f32_e32 v17, v17, v17
	v_min_f32_e32 v17, v17, v9
	s_delay_alu instid0(VALU_DEP_1) | instskip(NEXT) | instid1(VALU_DEP_1)
	v_and_b32_e32 v18, 0x7f800000, v17
	v_cmpx_ne_u32_e32 0x7f800000, v18
	s_xor_b32 s0, exec_lo, s0
; %bb.36:                               ;   in Loop: Header=BB16_3 Depth=1
	v_bfe_u32 v18, v17, 16, 1
	s_delay_alu instid0(VALU_DEP_1)
	v_add3_u32 v19, v17, v18, 0x7fff
                                        ; implicit-def: $vgpr17
; %bb.37:                               ;   in Loop: Header=BB16_3 Depth=1
	s_and_not1_saveexec_b32 s0, s0
; %bb.38:                               ;   in Loop: Header=BB16_3 Depth=1
	v_and_b32_e32 v18, 0xffff, v17
	v_or_b32_e32 v19, 0x10000, v17
	s_delay_alu instid0(VALU_DEP_2) | instskip(NEXT) | instid1(VALU_DEP_2)
	v_cmp_eq_u32_e32 vcc_lo, 0, v18
	v_cndmask_b32_e32 v19, v19, v17, vcc_lo
; %bb.39:                               ;   in Loop: Header=BB16_3 Depth=1
	s_or_b32 exec_lo, exec_lo, s0
	v_and_b32_e32 v6, 0xffff0000, v6
	s_mov_b32 s0, exec_lo
                                        ; implicit-def: $vgpr18
	s_delay_alu instid0(VALU_DEP_1) | instskip(NEXT) | instid1(VALU_DEP_1)
	v_max_f32_e32 v6, v6, v6
	v_min_f32_e32 v6, v6, v9
	s_delay_alu instid0(VALU_DEP_1) | instskip(NEXT) | instid1(VALU_DEP_1)
	v_and_b32_e32 v17, 0x7f800000, v6
	v_cmpx_ne_u32_e32 0x7f800000, v17
	s_xor_b32 s0, exec_lo, s0
; %bb.40:                               ;   in Loop: Header=BB16_3 Depth=1
	v_bfe_u32 v17, v6, 16, 1
	s_delay_alu instid0(VALU_DEP_1)
	v_add3_u32 v18, v6, v17, 0x7fff
                                        ; implicit-def: $vgpr6
; %bb.41:                               ;   in Loop: Header=BB16_3 Depth=1
	s_and_not1_saveexec_b32 s0, s0
; %bb.42:                               ;   in Loop: Header=BB16_3 Depth=1
	v_and_b32_e32 v17, 0xffff, v6
	v_or_b32_e32 v18, 0x10000, v6
	s_delay_alu instid0(VALU_DEP_2) | instskip(NEXT) | instid1(VALU_DEP_2)
	v_cmp_eq_u32_e32 vcc_lo, 0, v17
	v_cndmask_b32_e32 v18, v18, v6, vcc_lo
; %bb.43:                               ;   in Loop: Header=BB16_3 Depth=1
	s_or_b32 exec_lo, exec_lo, s0
	v_lshlrev_b32_e32 v6, 16, v2
	s_delay_alu instid0(VALU_DEP_1) | instskip(NEXT) | instid1(VALU_DEP_1)
	v_max_f32_e32 v6, v6, v6
	v_minmax_f32 v6, v6, v9, v16
	s_delay_alu instid0(VALU_DEP_1) | instskip(NEXT) | instid1(VALU_DEP_1)
	v_and_b32_e32 v17, 0x7f800000, v6
	v_cmp_ne_u32_e32 vcc_lo, 0x7f800000, v17
                                        ; implicit-def: $vgpr17
	s_and_saveexec_b32 s0, vcc_lo
	s_delay_alu instid0(SALU_CYCLE_1)
	s_xor_b32 s0, exec_lo, s0
; %bb.44:                               ;   in Loop: Header=BB16_3 Depth=1
	v_bfe_u32 v17, v6, 16, 1
	s_delay_alu instid0(VALU_DEP_1)
	v_add3_u32 v17, v6, v17, 0x7fff
                                        ; implicit-def: $vgpr6
; %bb.45:                               ;   in Loop: Header=BB16_3 Depth=1
	s_and_not1_saveexec_b32 s0, s0
; %bb.46:                               ;   in Loop: Header=BB16_3 Depth=1
	v_and_b32_e32 v17, 0xffff, v6
	v_or_b32_e32 v20, 0x10000, v6
	s_delay_alu instid0(VALU_DEP_2) | instskip(NEXT) | instid1(VALU_DEP_2)
	v_cmp_eq_u32_e32 vcc_lo, 0, v17
	v_cndmask_b32_e32 v17, v20, v6, vcc_lo
; %bb.47:                               ;   in Loop: Header=BB16_3 Depth=1
	s_or_b32 exec_lo, exec_lo, s0
	v_and_b32_e32 v2, 0xffff0000, v2
	s_delay_alu instid0(VALU_DEP_1) | instskip(NEXT) | instid1(VALU_DEP_1)
	v_max_f32_e32 v2, v2, v2
	v_minmax_f32 v2, v2, v9, v16
	s_delay_alu instid0(VALU_DEP_1) | instskip(NEXT) | instid1(VALU_DEP_1)
	v_and_b32_e32 v6, 0x7f800000, v2
	v_cmp_ne_u32_e32 vcc_lo, 0x7f800000, v6
                                        ; implicit-def: $vgpr6
	s_and_saveexec_b32 s0, vcc_lo
	s_delay_alu instid0(SALU_CYCLE_1)
	s_xor_b32 s0, exec_lo, s0
; %bb.48:                               ;   in Loop: Header=BB16_3 Depth=1
	v_bfe_u32 v6, v2, 16, 1
	s_delay_alu instid0(VALU_DEP_1)
	v_add3_u32 v6, v2, v6, 0x7fff
                                        ; implicit-def: $vgpr2
; %bb.49:                               ;   in Loop: Header=BB16_3 Depth=1
	s_and_not1_saveexec_b32 s0, s0
; %bb.50:                               ;   in Loop: Header=BB16_3 Depth=1
	v_and_b32_e32 v6, 0xffff, v2
	v_or_b32_e32 v20, 0x10000, v2
	s_delay_alu instid0(VALU_DEP_2) | instskip(NEXT) | instid1(VALU_DEP_2)
	v_cmp_eq_u32_e32 vcc_lo, 0, v6
	v_cndmask_b32_e32 v6, v20, v2, vcc_lo
; %bb.51:                               ;   in Loop: Header=BB16_3 Depth=1
	s_or_b32 exec_lo, exec_lo, s0
	v_and_b32_e32 v2, 0xffff0000, v19
	s_delay_alu instid0(VALU_DEP_1) | instskip(NEXT) | instid1(VALU_DEP_1)
	v_mul_f32_e32 v19, 0xbfb8aa3b, v2
	v_fma_f32 v20, 0xbfb8aa3b, v2, -v19
	v_rndne_f32_e32 v21, v19
	s_delay_alu instid0(VALU_DEP_1) | instskip(SKIP_1) | instid1(VALU_DEP_4)
	v_sub_f32_e32 v19, v19, v21
	v_cmp_nlt_f32_e32 vcc_lo, 0x42ce8ed0, v2
	v_fmac_f32_e32 v20, 0xb2a5705f, v2
	s_delay_alu instid0(VALU_DEP_1) | instskip(SKIP_1) | instid1(VALU_DEP_2)
	v_add_f32_e32 v19, v19, v20
	v_cvt_i32_f32_e32 v20, v21
	v_exp_f32_e32 v19, v19
	s_waitcnt_depctr 0xfff
	v_ldexp_f32 v19, v19, v20
	s_delay_alu instid0(VALU_DEP_1) | instskip(SKIP_1) | instid1(VALU_DEP_2)
	v_cndmask_b32_e32 v19, 0, v19, vcc_lo
	v_cmp_ngt_f32_e32 vcc_lo, 0xc2b17218, v2
	v_cndmask_b32_e32 v19, 0x7f800000, v19, vcc_lo
	s_delay_alu instid0(VALU_DEP_1) | instskip(NEXT) | instid1(VALU_DEP_1)
	v_add_f32_e32 v19, 1.0, v19
	v_div_scale_f32 v20, null, v19, v19, v2
	s_delay_alu instid0(VALU_DEP_1) | instskip(SKIP_2) | instid1(VALU_DEP_1)
	v_rcp_f32_e32 v21, v20
	s_waitcnt_depctr 0xfff
	v_fma_f32 v22, -v20, v21, 1.0
	v_fmac_f32_e32 v21, v22, v21
	v_div_scale_f32 v22, vcc_lo, v2, v19, v2
	s_delay_alu instid0(VALU_DEP_1) | instskip(NEXT) | instid1(VALU_DEP_1)
	v_mul_f32_e32 v23, v22, v21
	v_fma_f32 v24, -v20, v23, v22
	s_delay_alu instid0(VALU_DEP_1) | instskip(NEXT) | instid1(VALU_DEP_1)
	v_fmac_f32_e32 v23, v24, v21
	v_fma_f32 v20, -v20, v23, v22
	s_delay_alu instid0(VALU_DEP_1) | instskip(NEXT) | instid1(VALU_DEP_1)
	v_div_fmas_f32 v20, v20, v21, v23
	v_div_fixup_f32 v19, v20, v19, v2
	s_delay_alu instid0(VALU_DEP_1) | instskip(NEXT) | instid1(VALU_DEP_1)
	v_and_b32_e32 v2, 0x7f800000, v19
	v_cmp_ne_u32_e32 vcc_lo, 0x7f800000, v2
                                        ; implicit-def: $vgpr2
	s_and_saveexec_b32 s0, vcc_lo
	s_delay_alu instid0(SALU_CYCLE_1)
	s_xor_b32 s0, exec_lo, s0
; %bb.52:                               ;   in Loop: Header=BB16_3 Depth=1
	v_bfe_u32 v2, v19, 16, 1
	s_delay_alu instid0(VALU_DEP_1)
	v_add3_u32 v2, v19, v2, 0x7fff
                                        ; implicit-def: $vgpr19
; %bb.53:                               ;   in Loop: Header=BB16_3 Depth=1
	s_and_not1_saveexec_b32 s0, s0
; %bb.54:                               ;   in Loop: Header=BB16_3 Depth=1
	v_and_b32_e32 v2, 0xffff, v19
	v_or_b32_e32 v20, 0x10000, v19
	s_delay_alu instid0(VALU_DEP_2) | instskip(NEXT) | instid1(VALU_DEP_2)
	v_cmp_eq_u32_e32 vcc_lo, 0, v2
	v_cndmask_b32_e32 v2, v20, v19, vcc_lo
; %bb.55:                               ;   in Loop: Header=BB16_3 Depth=1
	s_or_b32 exec_lo, exec_lo, s0
	v_and_b32_e32 v18, 0xffff0000, v18
	s_delay_alu instid0(VALU_DEP_1) | instskip(NEXT) | instid1(VALU_DEP_1)
	v_mul_f32_e32 v19, 0xbfb8aa3b, v18
	v_fma_f32 v20, 0xbfb8aa3b, v18, -v19
	v_rndne_f32_e32 v21, v19
	s_delay_alu instid0(VALU_DEP_1) | instskip(SKIP_1) | instid1(VALU_DEP_4)
	v_sub_f32_e32 v19, v19, v21
	v_cmp_nlt_f32_e32 vcc_lo, 0x42ce8ed0, v18
	v_fmac_f32_e32 v20, 0xb2a5705f, v18
	s_delay_alu instid0(VALU_DEP_1) | instskip(SKIP_1) | instid1(VALU_DEP_2)
	v_add_f32_e32 v19, v19, v20
	v_cvt_i32_f32_e32 v20, v21
	v_exp_f32_e32 v19, v19
	s_waitcnt_depctr 0xfff
	v_ldexp_f32 v19, v19, v20
	s_delay_alu instid0(VALU_DEP_1) | instskip(SKIP_1) | instid1(VALU_DEP_2)
	v_cndmask_b32_e32 v19, 0, v19, vcc_lo
	v_cmp_ngt_f32_e32 vcc_lo, 0xc2b17218, v18
	v_cndmask_b32_e32 v19, 0x7f800000, v19, vcc_lo
	s_delay_alu instid0(VALU_DEP_1) | instskip(NEXT) | instid1(VALU_DEP_1)
	v_add_f32_e32 v19, 1.0, v19
	v_div_scale_f32 v20, null, v19, v19, v18
	s_delay_alu instid0(VALU_DEP_1) | instskip(SKIP_2) | instid1(VALU_DEP_1)
	v_rcp_f32_e32 v21, v20
	s_waitcnt_depctr 0xfff
	v_fma_f32 v22, -v20, v21, 1.0
	v_fmac_f32_e32 v21, v22, v21
	v_div_scale_f32 v22, vcc_lo, v18, v19, v18
	s_delay_alu instid0(VALU_DEP_1) | instskip(NEXT) | instid1(VALU_DEP_1)
	v_mul_f32_e32 v23, v22, v21
	v_fma_f32 v24, -v20, v23, v22
	s_delay_alu instid0(VALU_DEP_1) | instskip(NEXT) | instid1(VALU_DEP_1)
	v_fmac_f32_e32 v23, v24, v21
	v_fma_f32 v20, -v20, v23, v22
	s_delay_alu instid0(VALU_DEP_1) | instskip(NEXT) | instid1(VALU_DEP_1)
	v_div_fmas_f32 v20, v20, v21, v23
	v_div_fixup_f32 v19, v20, v19, v18
	s_delay_alu instid0(VALU_DEP_1) | instskip(NEXT) | instid1(VALU_DEP_1)
	v_and_b32_e32 v18, 0x7f800000, v19
	v_cmp_ne_u32_e32 vcc_lo, 0x7f800000, v18
                                        ; implicit-def: $vgpr18
	s_and_saveexec_b32 s0, vcc_lo
	s_delay_alu instid0(SALU_CYCLE_1)
	s_xor_b32 s0, exec_lo, s0
; %bb.56:                               ;   in Loop: Header=BB16_3 Depth=1
	v_bfe_u32 v18, v19, 16, 1
	s_delay_alu instid0(VALU_DEP_1)
	v_add3_u32 v18, v19, v18, 0x7fff
                                        ; implicit-def: $vgpr19
; %bb.57:                               ;   in Loop: Header=BB16_3 Depth=1
	s_and_not1_saveexec_b32 s0, s0
; %bb.58:                               ;   in Loop: Header=BB16_3 Depth=1
	v_and_b32_e32 v18, 0xffff, v19
	v_or_b32_e32 v20, 0x10000, v19
	s_delay_alu instid0(VALU_DEP_2) | instskip(NEXT) | instid1(VALU_DEP_2)
	v_cmp_eq_u32_e32 vcc_lo, 0, v18
	v_cndmask_b32_e32 v18, v20, v19, vcc_lo
; %bb.59:                               ;   in Loop: Header=BB16_3 Depth=1
	s_or_b32 exec_lo, exec_lo, s0
	v_and_b32_e32 v17, 0xffff0000, v17
	v_and_b32_e32 v2, 0xffff0000, v2
	s_delay_alu instid0(VALU_DEP_1) | instskip(NEXT) | instid1(VALU_DEP_1)
	v_mul_f32_e32 v17, v17, v2
	v_and_b32_e32 v2, 0x7f800000, v17
	s_delay_alu instid0(VALU_DEP_1) | instskip(SKIP_1) | instid1(SALU_CYCLE_1)
	v_cmp_ne_u32_e32 vcc_lo, 0x7f800000, v2
                                        ; implicit-def: $vgpr2
	s_and_saveexec_b32 s0, vcc_lo
	s_xor_b32 s0, exec_lo, s0
; %bb.60:                               ;   in Loop: Header=BB16_3 Depth=1
	v_bfe_u32 v2, v17, 16, 1
	s_delay_alu instid0(VALU_DEP_1)
	v_add3_u32 v2, v17, v2, 0x7fff
                                        ; implicit-def: $vgpr17
; %bb.61:                               ;   in Loop: Header=BB16_3 Depth=1
	s_and_not1_saveexec_b32 s0, s0
; %bb.62:                               ;   in Loop: Header=BB16_3 Depth=1
	v_and_b32_e32 v2, 0xffff, v17
	v_or_b32_e32 v19, 0x10000, v17
	s_delay_alu instid0(VALU_DEP_2) | instskip(NEXT) | instid1(VALU_DEP_2)
	v_cmp_eq_u32_e32 vcc_lo, 0, v2
	v_cndmask_b32_e32 v2, v19, v17, vcc_lo
; %bb.63:                               ;   in Loop: Header=BB16_3 Depth=1
	s_or_b32 exec_lo, exec_lo, s0
	v_and_b32_e32 v17, 0xffff0000, v18
	v_and_b32_e32 v6, 0xffff0000, v6
	s_delay_alu instid0(VALU_DEP_1) | instskip(NEXT) | instid1(VALU_DEP_1)
	v_mul_f32_e32 v17, v6, v17
	v_and_b32_e32 v6, 0x7f800000, v17
	s_delay_alu instid0(VALU_DEP_1) | instskip(SKIP_1) | instid1(SALU_CYCLE_1)
	v_cmp_ne_u32_e32 vcc_lo, 0x7f800000, v6
                                        ; implicit-def: $vgpr6
	s_and_saveexec_b32 s0, vcc_lo
	s_xor_b32 s0, exec_lo, s0
; %bb.64:                               ;   in Loop: Header=BB16_3 Depth=1
	v_bfe_u32 v6, v17, 16, 1
	s_delay_alu instid0(VALU_DEP_1)
	v_add3_u32 v6, v17, v6, 0x7fff
                                        ; implicit-def: $vgpr17
; %bb.65:                               ;   in Loop: Header=BB16_3 Depth=1
	s_and_not1_saveexec_b32 s0, s0
; %bb.66:                               ;   in Loop: Header=BB16_3 Depth=1
	v_and_b32_e32 v6, 0xffff, v17
	v_or_b32_e32 v18, 0x10000, v17
	s_delay_alu instid0(VALU_DEP_2) | instskip(NEXT) | instid1(VALU_DEP_2)
	v_cmp_eq_u32_e32 vcc_lo, 0, v6
	v_cndmask_b32_e32 v6, v18, v17, vcc_lo
; %bb.67:                               ;   in Loop: Header=BB16_3 Depth=1
	s_or_b32 exec_lo, exec_lo, s0
	v_lshlrev_b32_e32 v17, 16, v7
	s_mov_b32 s0, exec_lo
                                        ; implicit-def: $vgpr19
	s_delay_alu instid0(VALU_DEP_1) | instskip(NEXT) | instid1(VALU_DEP_1)
	v_max_f32_e32 v17, v17, v17
	v_min_f32_e32 v17, v17, v9
	s_delay_alu instid0(VALU_DEP_1) | instskip(NEXT) | instid1(VALU_DEP_1)
	v_and_b32_e32 v18, 0x7f800000, v17
	v_cmpx_ne_u32_e32 0x7f800000, v18
	s_xor_b32 s0, exec_lo, s0
; %bb.68:                               ;   in Loop: Header=BB16_3 Depth=1
	v_bfe_u32 v18, v17, 16, 1
	s_delay_alu instid0(VALU_DEP_1)
	v_add3_u32 v19, v17, v18, 0x7fff
                                        ; implicit-def: $vgpr17
; %bb.69:                               ;   in Loop: Header=BB16_3 Depth=1
	s_and_not1_saveexec_b32 s0, s0
; %bb.70:                               ;   in Loop: Header=BB16_3 Depth=1
	v_and_b32_e32 v18, 0xffff, v17
	v_or_b32_e32 v19, 0x10000, v17
	s_delay_alu instid0(VALU_DEP_2) | instskip(NEXT) | instid1(VALU_DEP_2)
	v_cmp_eq_u32_e32 vcc_lo, 0, v18
	v_cndmask_b32_e32 v19, v19, v17, vcc_lo
; %bb.71:                               ;   in Loop: Header=BB16_3 Depth=1
	s_or_b32 exec_lo, exec_lo, s0
	v_and_b32_e32 v7, 0xffff0000, v7
	s_mov_b32 s0, exec_lo
                                        ; implicit-def: $vgpr18
	s_delay_alu instid0(VALU_DEP_1) | instskip(NEXT) | instid1(VALU_DEP_1)
	v_max_f32_e32 v7, v7, v7
	v_min_f32_e32 v7, v7, v9
	s_delay_alu instid0(VALU_DEP_1) | instskip(NEXT) | instid1(VALU_DEP_1)
	v_and_b32_e32 v17, 0x7f800000, v7
	v_cmpx_ne_u32_e32 0x7f800000, v17
	s_xor_b32 s0, exec_lo, s0
; %bb.72:                               ;   in Loop: Header=BB16_3 Depth=1
	v_bfe_u32 v17, v7, 16, 1
	s_delay_alu instid0(VALU_DEP_1)
	v_add3_u32 v18, v7, v17, 0x7fff
                                        ; implicit-def: $vgpr7
; %bb.73:                               ;   in Loop: Header=BB16_3 Depth=1
	s_and_not1_saveexec_b32 s0, s0
; %bb.74:                               ;   in Loop: Header=BB16_3 Depth=1
	v_and_b32_e32 v17, 0xffff, v7
	v_or_b32_e32 v18, 0x10000, v7
	s_delay_alu instid0(VALU_DEP_2) | instskip(NEXT) | instid1(VALU_DEP_2)
	v_cmp_eq_u32_e32 vcc_lo, 0, v17
	v_cndmask_b32_e32 v18, v18, v7, vcc_lo
; %bb.75:                               ;   in Loop: Header=BB16_3 Depth=1
	s_or_b32 exec_lo, exec_lo, s0
	v_lshlrev_b32_e32 v7, 16, v3
	s_delay_alu instid0(VALU_DEP_1) | instskip(NEXT) | instid1(VALU_DEP_1)
	v_max_f32_e32 v7, v7, v7
	v_minmax_f32 v7, v7, v9, v16
	s_delay_alu instid0(VALU_DEP_1) | instskip(NEXT) | instid1(VALU_DEP_1)
	v_and_b32_e32 v17, 0x7f800000, v7
	v_cmp_ne_u32_e32 vcc_lo, 0x7f800000, v17
                                        ; implicit-def: $vgpr17
	s_and_saveexec_b32 s0, vcc_lo
	s_delay_alu instid0(SALU_CYCLE_1)
	s_xor_b32 s0, exec_lo, s0
; %bb.76:                               ;   in Loop: Header=BB16_3 Depth=1
	v_bfe_u32 v17, v7, 16, 1
	s_delay_alu instid0(VALU_DEP_1)
	v_add3_u32 v17, v7, v17, 0x7fff
                                        ; implicit-def: $vgpr7
; %bb.77:                               ;   in Loop: Header=BB16_3 Depth=1
	s_and_not1_saveexec_b32 s0, s0
; %bb.78:                               ;   in Loop: Header=BB16_3 Depth=1
	v_and_b32_e32 v17, 0xffff, v7
	v_or_b32_e32 v20, 0x10000, v7
	s_delay_alu instid0(VALU_DEP_2) | instskip(NEXT) | instid1(VALU_DEP_2)
	v_cmp_eq_u32_e32 vcc_lo, 0, v17
	v_cndmask_b32_e32 v17, v20, v7, vcc_lo
; %bb.79:                               ;   in Loop: Header=BB16_3 Depth=1
	s_or_b32 exec_lo, exec_lo, s0
	v_and_b32_e32 v3, 0xffff0000, v3
	s_delay_alu instid0(VALU_DEP_1) | instskip(NEXT) | instid1(VALU_DEP_1)
	v_max_f32_e32 v3, v3, v3
	v_minmax_f32 v3, v3, v9, v16
	s_delay_alu instid0(VALU_DEP_1) | instskip(NEXT) | instid1(VALU_DEP_1)
	v_and_b32_e32 v7, 0x7f800000, v3
	v_cmp_ne_u32_e32 vcc_lo, 0x7f800000, v7
                                        ; implicit-def: $vgpr7
	s_and_saveexec_b32 s0, vcc_lo
	s_delay_alu instid0(SALU_CYCLE_1)
	s_xor_b32 s0, exec_lo, s0
; %bb.80:                               ;   in Loop: Header=BB16_3 Depth=1
	v_bfe_u32 v7, v3, 16, 1
	s_delay_alu instid0(VALU_DEP_1)
	v_add3_u32 v7, v3, v7, 0x7fff
                                        ; implicit-def: $vgpr3
; %bb.81:                               ;   in Loop: Header=BB16_3 Depth=1
	s_and_not1_saveexec_b32 s0, s0
; %bb.82:                               ;   in Loop: Header=BB16_3 Depth=1
	v_and_b32_e32 v7, 0xffff, v3
	v_or_b32_e32 v20, 0x10000, v3
	s_delay_alu instid0(VALU_DEP_2) | instskip(NEXT) | instid1(VALU_DEP_2)
	v_cmp_eq_u32_e32 vcc_lo, 0, v7
	v_cndmask_b32_e32 v7, v20, v3, vcc_lo
; %bb.83:                               ;   in Loop: Header=BB16_3 Depth=1
	s_or_b32 exec_lo, exec_lo, s0
	v_and_b32_e32 v3, 0xffff0000, v19
	s_delay_alu instid0(VALU_DEP_1) | instskip(SKIP_1) | instid1(VALU_DEP_2)
	v_mul_f32_e32 v19, 0xbfb8aa3b, v3
	v_cmp_nlt_f32_e32 vcc_lo, 0x42ce8ed0, v3
	v_fma_f32 v20, 0xbfb8aa3b, v3, -v19
	v_rndne_f32_e32 v21, v19
	s_delay_alu instid0(VALU_DEP_1) | instskip(NEXT) | instid1(VALU_DEP_1)
	v_dual_fmac_f32 v20, 0xb2a5705f, v3 :: v_dual_sub_f32 v19, v19, v21
	v_add_f32_e32 v19, v19, v20
	v_cvt_i32_f32_e32 v20, v21
	s_delay_alu instid0(VALU_DEP_2) | instskip(SKIP_2) | instid1(VALU_DEP_1)
	v_exp_f32_e32 v19, v19
	s_waitcnt_depctr 0xfff
	v_ldexp_f32 v19, v19, v20
	v_cndmask_b32_e32 v19, 0, v19, vcc_lo
	v_cmp_ngt_f32_e32 vcc_lo, 0xc2b17218, v3
	s_delay_alu instid0(VALU_DEP_2) | instskip(NEXT) | instid1(VALU_DEP_1)
	v_cndmask_b32_e32 v19, 0x7f800000, v19, vcc_lo
	v_add_f32_e32 v19, 1.0, v19
	s_delay_alu instid0(VALU_DEP_1) | instskip(NEXT) | instid1(VALU_DEP_1)
	v_div_scale_f32 v20, null, v19, v19, v3
	v_rcp_f32_e32 v21, v20
	s_waitcnt_depctr 0xfff
	v_fma_f32 v22, -v20, v21, 1.0
	s_delay_alu instid0(VALU_DEP_1) | instskip(SKIP_1) | instid1(VALU_DEP_1)
	v_fmac_f32_e32 v21, v22, v21
	v_div_scale_f32 v22, vcc_lo, v3, v19, v3
	v_mul_f32_e32 v23, v22, v21
	s_delay_alu instid0(VALU_DEP_1) | instskip(NEXT) | instid1(VALU_DEP_1)
	v_fma_f32 v24, -v20, v23, v22
	v_fmac_f32_e32 v23, v24, v21
	s_delay_alu instid0(VALU_DEP_1) | instskip(NEXT) | instid1(VALU_DEP_1)
	v_fma_f32 v20, -v20, v23, v22
	v_div_fmas_f32 v20, v20, v21, v23
	s_delay_alu instid0(VALU_DEP_1) | instskip(NEXT) | instid1(VALU_DEP_1)
	v_div_fixup_f32 v19, v20, v19, v3
	v_and_b32_e32 v3, 0x7f800000, v19
	s_delay_alu instid0(VALU_DEP_1) | instskip(SKIP_1) | instid1(SALU_CYCLE_1)
	v_cmp_ne_u32_e32 vcc_lo, 0x7f800000, v3
                                        ; implicit-def: $vgpr3
	s_and_saveexec_b32 s0, vcc_lo
	s_xor_b32 s0, exec_lo, s0
; %bb.84:                               ;   in Loop: Header=BB16_3 Depth=1
	v_bfe_u32 v3, v19, 16, 1
	s_delay_alu instid0(VALU_DEP_1)
	v_add3_u32 v3, v19, v3, 0x7fff
                                        ; implicit-def: $vgpr19
; %bb.85:                               ;   in Loop: Header=BB16_3 Depth=1
	s_and_not1_saveexec_b32 s0, s0
; %bb.86:                               ;   in Loop: Header=BB16_3 Depth=1
	v_and_b32_e32 v3, 0xffff, v19
	v_or_b32_e32 v20, 0x10000, v19
	s_delay_alu instid0(VALU_DEP_2) | instskip(NEXT) | instid1(VALU_DEP_2)
	v_cmp_eq_u32_e32 vcc_lo, 0, v3
	v_cndmask_b32_e32 v3, v20, v19, vcc_lo
; %bb.87:                               ;   in Loop: Header=BB16_3 Depth=1
	s_or_b32 exec_lo, exec_lo, s0
	v_and_b32_e32 v18, 0xffff0000, v18
	s_delay_alu instid0(VALU_DEP_1) | instskip(NEXT) | instid1(VALU_DEP_1)
	v_mul_f32_e32 v19, 0xbfb8aa3b, v18
	v_fma_f32 v20, 0xbfb8aa3b, v18, -v19
	v_rndne_f32_e32 v21, v19
	s_delay_alu instid0(VALU_DEP_1) | instskip(SKIP_1) | instid1(VALU_DEP_4)
	v_sub_f32_e32 v19, v19, v21
	v_cmp_nlt_f32_e32 vcc_lo, 0x42ce8ed0, v18
	v_fmac_f32_e32 v20, 0xb2a5705f, v18
	s_delay_alu instid0(VALU_DEP_1) | instskip(SKIP_1) | instid1(VALU_DEP_2)
	v_add_f32_e32 v19, v19, v20
	v_cvt_i32_f32_e32 v20, v21
	v_exp_f32_e32 v19, v19
	s_waitcnt_depctr 0xfff
	v_ldexp_f32 v19, v19, v20
	s_delay_alu instid0(VALU_DEP_1) | instskip(SKIP_1) | instid1(VALU_DEP_2)
	v_cndmask_b32_e32 v19, 0, v19, vcc_lo
	v_cmp_ngt_f32_e32 vcc_lo, 0xc2b17218, v18
	v_cndmask_b32_e32 v19, 0x7f800000, v19, vcc_lo
	s_delay_alu instid0(VALU_DEP_1) | instskip(NEXT) | instid1(VALU_DEP_1)
	v_add_f32_e32 v19, 1.0, v19
	v_div_scale_f32 v20, null, v19, v19, v18
	s_delay_alu instid0(VALU_DEP_1) | instskip(SKIP_2) | instid1(VALU_DEP_1)
	v_rcp_f32_e32 v21, v20
	s_waitcnt_depctr 0xfff
	v_fma_f32 v22, -v20, v21, 1.0
	v_fmac_f32_e32 v21, v22, v21
	v_div_scale_f32 v22, vcc_lo, v18, v19, v18
	s_delay_alu instid0(VALU_DEP_1) | instskip(NEXT) | instid1(VALU_DEP_1)
	v_mul_f32_e32 v23, v22, v21
	v_fma_f32 v24, -v20, v23, v22
	s_delay_alu instid0(VALU_DEP_1) | instskip(NEXT) | instid1(VALU_DEP_1)
	v_fmac_f32_e32 v23, v24, v21
	v_fma_f32 v20, -v20, v23, v22
	s_delay_alu instid0(VALU_DEP_1) | instskip(NEXT) | instid1(VALU_DEP_1)
	v_div_fmas_f32 v20, v20, v21, v23
	v_div_fixup_f32 v19, v20, v19, v18
	s_delay_alu instid0(VALU_DEP_1) | instskip(NEXT) | instid1(VALU_DEP_1)
	v_and_b32_e32 v18, 0x7f800000, v19
	v_cmp_ne_u32_e32 vcc_lo, 0x7f800000, v18
                                        ; implicit-def: $vgpr18
	s_and_saveexec_b32 s0, vcc_lo
	s_delay_alu instid0(SALU_CYCLE_1)
	s_xor_b32 s0, exec_lo, s0
; %bb.88:                               ;   in Loop: Header=BB16_3 Depth=1
	v_bfe_u32 v18, v19, 16, 1
	s_delay_alu instid0(VALU_DEP_1)
	v_add3_u32 v18, v19, v18, 0x7fff
                                        ; implicit-def: $vgpr19
; %bb.89:                               ;   in Loop: Header=BB16_3 Depth=1
	s_and_not1_saveexec_b32 s0, s0
; %bb.90:                               ;   in Loop: Header=BB16_3 Depth=1
	v_and_b32_e32 v18, 0xffff, v19
	v_or_b32_e32 v20, 0x10000, v19
	s_delay_alu instid0(VALU_DEP_2) | instskip(NEXT) | instid1(VALU_DEP_2)
	v_cmp_eq_u32_e32 vcc_lo, 0, v18
	v_cndmask_b32_e32 v18, v20, v19, vcc_lo
; %bb.91:                               ;   in Loop: Header=BB16_3 Depth=1
	s_or_b32 exec_lo, exec_lo, s0
	v_and_b32_e32 v17, 0xffff0000, v17
	v_and_b32_e32 v3, 0xffff0000, v3
	s_delay_alu instid0(VALU_DEP_1) | instskip(NEXT) | instid1(VALU_DEP_1)
	v_mul_f32_e32 v17, v17, v3
	v_and_b32_e32 v3, 0x7f800000, v17
	s_delay_alu instid0(VALU_DEP_1) | instskip(SKIP_1) | instid1(SALU_CYCLE_1)
	v_cmp_ne_u32_e32 vcc_lo, 0x7f800000, v3
                                        ; implicit-def: $vgpr3
	s_and_saveexec_b32 s0, vcc_lo
	s_xor_b32 s0, exec_lo, s0
; %bb.92:                               ;   in Loop: Header=BB16_3 Depth=1
	v_bfe_u32 v3, v17, 16, 1
	s_delay_alu instid0(VALU_DEP_1)
	v_add3_u32 v3, v17, v3, 0x7fff
                                        ; implicit-def: $vgpr17
; %bb.93:                               ;   in Loop: Header=BB16_3 Depth=1
	s_and_not1_saveexec_b32 s0, s0
; %bb.94:                               ;   in Loop: Header=BB16_3 Depth=1
	v_and_b32_e32 v3, 0xffff, v17
	v_or_b32_e32 v19, 0x10000, v17
	s_delay_alu instid0(VALU_DEP_2) | instskip(NEXT) | instid1(VALU_DEP_2)
	v_cmp_eq_u32_e32 vcc_lo, 0, v3
	v_cndmask_b32_e32 v3, v19, v17, vcc_lo
; %bb.95:                               ;   in Loop: Header=BB16_3 Depth=1
	s_or_b32 exec_lo, exec_lo, s0
	v_and_b32_e32 v17, 0xffff0000, v18
	v_and_b32_e32 v7, 0xffff0000, v7
	s_delay_alu instid0(VALU_DEP_1) | instskip(NEXT) | instid1(VALU_DEP_1)
	v_mul_f32_e32 v17, v7, v17
	v_and_b32_e32 v7, 0x7f800000, v17
	s_delay_alu instid0(VALU_DEP_1) | instskip(SKIP_1) | instid1(SALU_CYCLE_1)
	v_cmp_ne_u32_e32 vcc_lo, 0x7f800000, v7
                                        ; implicit-def: $vgpr7
	s_and_saveexec_b32 s0, vcc_lo
	s_xor_b32 s0, exec_lo, s0
; %bb.96:                               ;   in Loop: Header=BB16_3 Depth=1
	v_bfe_u32 v7, v17, 16, 1
	s_delay_alu instid0(VALU_DEP_1)
	v_add3_u32 v7, v17, v7, 0x7fff
                                        ; implicit-def: $vgpr17
; %bb.97:                               ;   in Loop: Header=BB16_3 Depth=1
	s_and_not1_saveexec_b32 s0, s0
; %bb.98:                               ;   in Loop: Header=BB16_3 Depth=1
	v_and_b32_e32 v7, 0xffff, v17
	v_or_b32_e32 v18, 0x10000, v17
	s_delay_alu instid0(VALU_DEP_2) | instskip(NEXT) | instid1(VALU_DEP_2)
	v_cmp_eq_u32_e32 vcc_lo, 0, v7
	v_cndmask_b32_e32 v7, v18, v17, vcc_lo
; %bb.99:                               ;   in Loop: Header=BB16_3 Depth=1
	s_or_b32 exec_lo, exec_lo, s0
	v_lshlrev_b32_e32 v17, 16, v8
	s_delay_alu instid0(VALU_DEP_1) | instskip(NEXT) | instid1(VALU_DEP_1)
	v_max_f32_e32 v17, v17, v17
	v_min_f32_e32 v17, v17, v9
	s_delay_alu instid0(VALU_DEP_1) | instskip(NEXT) | instid1(VALU_DEP_1)
	v_and_b32_e32 v18, 0x7f800000, v17
	v_cmp_ne_u32_e32 vcc_lo, 0x7f800000, v18
                                        ; implicit-def: $vgpr18
	s_and_saveexec_b32 s0, vcc_lo
	s_delay_alu instid0(SALU_CYCLE_1)
	s_xor_b32 s0, exec_lo, s0
; %bb.100:                              ;   in Loop: Header=BB16_3 Depth=1
	v_bfe_u32 v18, v17, 16, 1
	s_delay_alu instid0(VALU_DEP_1)
	v_add3_u32 v18, v17, v18, 0x7fff
                                        ; implicit-def: $vgpr17
; %bb.101:                              ;   in Loop: Header=BB16_3 Depth=1
	s_and_not1_saveexec_b32 s0, s0
; %bb.102:                              ;   in Loop: Header=BB16_3 Depth=1
	v_and_b32_e32 v18, 0xffff, v17
	v_or_b32_e32 v19, 0x10000, v17
	s_delay_alu instid0(VALU_DEP_2) | instskip(NEXT) | instid1(VALU_DEP_2)
	v_cmp_eq_u32_e32 vcc_lo, 0, v18
	v_cndmask_b32_e32 v18, v19, v17, vcc_lo
; %bb.103:                              ;   in Loop: Header=BB16_3 Depth=1
	s_or_b32 exec_lo, exec_lo, s0
	v_and_b32_e32 v8, 0xffff0000, v8
	s_delay_alu instid0(VALU_DEP_1) | instskip(NEXT) | instid1(VALU_DEP_1)
	v_max_f32_e32 v8, v8, v8
	v_min_f32_e32 v8, v8, v9
	s_delay_alu instid0(VALU_DEP_1) | instskip(NEXT) | instid1(VALU_DEP_1)
	v_and_b32_e32 v17, 0x7f800000, v8
	v_cmp_ne_u32_e32 vcc_lo, 0x7f800000, v17
                                        ; implicit-def: $vgpr17
	s_and_saveexec_b32 s0, vcc_lo
	s_delay_alu instid0(SALU_CYCLE_1)
	s_xor_b32 s0, exec_lo, s0
; %bb.104:                              ;   in Loop: Header=BB16_3 Depth=1
	v_bfe_u32 v17, v8, 16, 1
	s_delay_alu instid0(VALU_DEP_1)
	v_add3_u32 v17, v8, v17, 0x7fff
                                        ; implicit-def: $vgpr8
; %bb.105:                              ;   in Loop: Header=BB16_3 Depth=1
	s_and_not1_saveexec_b32 s0, s0
; %bb.106:                              ;   in Loop: Header=BB16_3 Depth=1
	v_and_b32_e32 v17, 0xffff, v8
	v_or_b32_e32 v19, 0x10000, v8
	s_delay_alu instid0(VALU_DEP_2) | instskip(NEXT) | instid1(VALU_DEP_2)
	v_cmp_eq_u32_e32 vcc_lo, 0, v17
	v_cndmask_b32_e32 v17, v19, v8, vcc_lo
; %bb.107:                              ;   in Loop: Header=BB16_3 Depth=1
	s_or_b32 exec_lo, exec_lo, s0
	v_lshlrev_b32_e32 v8, 16, v4
	s_delay_alu instid0(VALU_DEP_1) | instskip(NEXT) | instid1(VALU_DEP_1)
	v_max_f32_e32 v8, v8, v8
	v_minmax_f32 v19, v8, v9, v16
	s_delay_alu instid0(VALU_DEP_1) | instskip(NEXT) | instid1(VALU_DEP_1)
	v_and_b32_e32 v8, 0x7f800000, v19
	v_cmp_ne_u32_e32 vcc_lo, 0x7f800000, v8
                                        ; implicit-def: $vgpr8
	s_and_saveexec_b32 s0, vcc_lo
	s_delay_alu instid0(SALU_CYCLE_1)
	s_xor_b32 s0, exec_lo, s0
; %bb.108:                              ;   in Loop: Header=BB16_3 Depth=1
	v_bfe_u32 v8, v19, 16, 1
	s_delay_alu instid0(VALU_DEP_1)
	v_add3_u32 v8, v19, v8, 0x7fff
                                        ; implicit-def: $vgpr19
; %bb.109:                              ;   in Loop: Header=BB16_3 Depth=1
	s_and_not1_saveexec_b32 s0, s0
; %bb.110:                              ;   in Loop: Header=BB16_3 Depth=1
	v_and_b32_e32 v8, 0xffff, v19
	v_or_b32_e32 v20, 0x10000, v19
	s_delay_alu instid0(VALU_DEP_2) | instskip(NEXT) | instid1(VALU_DEP_2)
	v_cmp_eq_u32_e32 vcc_lo, 0, v8
	v_cndmask_b32_e32 v8, v20, v19, vcc_lo
; %bb.111:                              ;   in Loop: Header=BB16_3 Depth=1
	s_or_b32 exec_lo, exec_lo, s0
	v_and_b32_e32 v4, 0xffff0000, v4
	s_delay_alu instid0(VALU_DEP_1) | instskip(NEXT) | instid1(VALU_DEP_1)
	v_max_f32_e32 v4, v4, v4
	v_minmax_f32 v19, v4, v9, v16
	s_delay_alu instid0(VALU_DEP_1) | instskip(NEXT) | instid1(VALU_DEP_1)
	v_and_b32_e32 v4, 0x7f800000, v19
	v_cmp_ne_u32_e32 vcc_lo, 0x7f800000, v4
                                        ; implicit-def: $vgpr4
	s_and_saveexec_b32 s0, vcc_lo
	s_delay_alu instid0(SALU_CYCLE_1)
	s_xor_b32 s0, exec_lo, s0
; %bb.112:                              ;   in Loop: Header=BB16_3 Depth=1
	v_bfe_u32 v4, v19, 16, 1
	s_delay_alu instid0(VALU_DEP_1)
	v_add3_u32 v4, v19, v4, 0x7fff
                                        ; implicit-def: $vgpr19
; %bb.113:                              ;   in Loop: Header=BB16_3 Depth=1
	s_and_not1_saveexec_b32 s0, s0
; %bb.114:                              ;   in Loop: Header=BB16_3 Depth=1
	v_and_b32_e32 v4, 0xffff, v19
	v_or_b32_e32 v20, 0x10000, v19
	s_delay_alu instid0(VALU_DEP_2) | instskip(NEXT) | instid1(VALU_DEP_2)
	v_cmp_eq_u32_e32 vcc_lo, 0, v4
	v_cndmask_b32_e32 v4, v20, v19, vcc_lo
; %bb.115:                              ;   in Loop: Header=BB16_3 Depth=1
	s_or_b32 exec_lo, exec_lo, s0
	v_and_b32_e32 v18, 0xffff0000, v18
	s_delay_alu instid0(VALU_DEP_1) | instskip(NEXT) | instid1(VALU_DEP_1)
	v_mul_f32_e32 v19, 0xbfb8aa3b, v18
	v_fma_f32 v20, 0xbfb8aa3b, v18, -v19
	v_rndne_f32_e32 v21, v19
	s_delay_alu instid0(VALU_DEP_1) | instskip(SKIP_1) | instid1(VALU_DEP_4)
	v_sub_f32_e32 v19, v19, v21
	v_cmp_nlt_f32_e32 vcc_lo, 0x42ce8ed0, v18
	v_fmac_f32_e32 v20, 0xb2a5705f, v18
	s_delay_alu instid0(VALU_DEP_1) | instskip(SKIP_1) | instid1(VALU_DEP_2)
	v_add_f32_e32 v19, v19, v20
	v_cvt_i32_f32_e32 v20, v21
	v_exp_f32_e32 v19, v19
	s_waitcnt_depctr 0xfff
	v_ldexp_f32 v19, v19, v20
	s_delay_alu instid0(VALU_DEP_1) | instskip(SKIP_1) | instid1(VALU_DEP_2)
	v_cndmask_b32_e32 v19, 0, v19, vcc_lo
	v_cmp_ngt_f32_e32 vcc_lo, 0xc2b17218, v18
	v_cndmask_b32_e32 v19, 0x7f800000, v19, vcc_lo
	s_delay_alu instid0(VALU_DEP_1) | instskip(NEXT) | instid1(VALU_DEP_1)
	v_add_f32_e32 v19, 1.0, v19
	v_div_scale_f32 v20, null, v19, v19, v18
	s_delay_alu instid0(VALU_DEP_1) | instskip(SKIP_2) | instid1(VALU_DEP_1)
	v_rcp_f32_e32 v21, v20
	s_waitcnt_depctr 0xfff
	v_fma_f32 v22, -v20, v21, 1.0
	v_fmac_f32_e32 v21, v22, v21
	v_div_scale_f32 v22, vcc_lo, v18, v19, v18
	s_delay_alu instid0(VALU_DEP_1) | instskip(NEXT) | instid1(VALU_DEP_1)
	v_mul_f32_e32 v23, v22, v21
	v_fma_f32 v24, -v20, v23, v22
	s_delay_alu instid0(VALU_DEP_1) | instskip(NEXT) | instid1(VALU_DEP_1)
	v_fmac_f32_e32 v23, v24, v21
	v_fma_f32 v20, -v20, v23, v22
	s_delay_alu instid0(VALU_DEP_1) | instskip(NEXT) | instid1(VALU_DEP_1)
	v_div_fmas_f32 v20, v20, v21, v23
	v_div_fixup_f32 v19, v20, v19, v18
	s_delay_alu instid0(VALU_DEP_1) | instskip(NEXT) | instid1(VALU_DEP_1)
	v_and_b32_e32 v18, 0x7f800000, v19
	v_cmp_ne_u32_e32 vcc_lo, 0x7f800000, v18
                                        ; implicit-def: $vgpr18
	s_and_saveexec_b32 s0, vcc_lo
	s_delay_alu instid0(SALU_CYCLE_1)
	s_xor_b32 s0, exec_lo, s0
; %bb.116:                              ;   in Loop: Header=BB16_3 Depth=1
	v_bfe_u32 v18, v19, 16, 1
	s_delay_alu instid0(VALU_DEP_1)
	v_add3_u32 v18, v19, v18, 0x7fff
                                        ; implicit-def: $vgpr19
; %bb.117:                              ;   in Loop: Header=BB16_3 Depth=1
	s_and_not1_saveexec_b32 s0, s0
; %bb.118:                              ;   in Loop: Header=BB16_3 Depth=1
	v_and_b32_e32 v18, 0xffff, v19
	v_or_b32_e32 v20, 0x10000, v19
	s_delay_alu instid0(VALU_DEP_2) | instskip(NEXT) | instid1(VALU_DEP_2)
	v_cmp_eq_u32_e32 vcc_lo, 0, v18
	v_cndmask_b32_e32 v18, v20, v19, vcc_lo
; %bb.119:                              ;   in Loop: Header=BB16_3 Depth=1
	s_or_b32 exec_lo, exec_lo, s0
	v_and_b32_e32 v17, 0xffff0000, v17
	s_delay_alu instid0(VALU_DEP_1) | instskip(SKIP_1) | instid1(VALU_DEP_2)
	v_mul_f32_e32 v19, 0xbfb8aa3b, v17
	v_cmp_nlt_f32_e32 vcc_lo, 0x42ce8ed0, v17
	v_fma_f32 v20, 0xbfb8aa3b, v17, -v19
	v_rndne_f32_e32 v21, v19
	s_delay_alu instid0(VALU_DEP_2) | instskip(NEXT) | instid1(VALU_DEP_2)
	v_fmac_f32_e32 v20, 0xb2a5705f, v17
	v_sub_f32_e32 v19, v19, v21
	s_delay_alu instid0(VALU_DEP_1) | instskip(SKIP_1) | instid1(VALU_DEP_2)
	v_add_f32_e32 v19, v19, v20
	v_cvt_i32_f32_e32 v20, v21
	v_exp_f32_e32 v19, v19
	s_waitcnt_depctr 0xfff
	v_ldexp_f32 v19, v19, v20
	s_delay_alu instid0(VALU_DEP_1) | instskip(SKIP_1) | instid1(VALU_DEP_2)
	v_cndmask_b32_e32 v19, 0, v19, vcc_lo
	v_cmp_ngt_f32_e32 vcc_lo, 0xc2b17218, v17
	v_cndmask_b32_e32 v19, 0x7f800000, v19, vcc_lo
	s_delay_alu instid0(VALU_DEP_1) | instskip(NEXT) | instid1(VALU_DEP_1)
	v_add_f32_e32 v19, 1.0, v19
	v_div_scale_f32 v20, null, v19, v19, v17
	s_delay_alu instid0(VALU_DEP_1) | instskip(SKIP_2) | instid1(VALU_DEP_1)
	v_rcp_f32_e32 v21, v20
	s_waitcnt_depctr 0xfff
	v_fma_f32 v22, -v20, v21, 1.0
	v_fmac_f32_e32 v21, v22, v21
	v_div_scale_f32 v22, vcc_lo, v17, v19, v17
	s_delay_alu instid0(VALU_DEP_1) | instskip(NEXT) | instid1(VALU_DEP_1)
	v_mul_f32_e32 v23, v22, v21
	v_fma_f32 v24, -v20, v23, v22
	s_delay_alu instid0(VALU_DEP_1) | instskip(NEXT) | instid1(VALU_DEP_1)
	v_fmac_f32_e32 v23, v24, v21
	v_fma_f32 v20, -v20, v23, v22
	s_delay_alu instid0(VALU_DEP_1) | instskip(NEXT) | instid1(VALU_DEP_1)
	v_div_fmas_f32 v20, v20, v21, v23
	v_div_fixup_f32 v19, v20, v19, v17
	s_delay_alu instid0(VALU_DEP_1) | instskip(NEXT) | instid1(VALU_DEP_1)
	v_and_b32_e32 v17, 0x7f800000, v19
	v_cmp_ne_u32_e32 vcc_lo, 0x7f800000, v17
                                        ; implicit-def: $vgpr17
	s_and_saveexec_b32 s0, vcc_lo
	s_delay_alu instid0(SALU_CYCLE_1)
	s_xor_b32 s0, exec_lo, s0
; %bb.120:                              ;   in Loop: Header=BB16_3 Depth=1
	v_bfe_u32 v17, v19, 16, 1
	s_delay_alu instid0(VALU_DEP_1)
	v_add3_u32 v17, v19, v17, 0x7fff
                                        ; implicit-def: $vgpr19
; %bb.121:                              ;   in Loop: Header=BB16_3 Depth=1
	s_and_not1_saveexec_b32 s0, s0
; %bb.122:                              ;   in Loop: Header=BB16_3 Depth=1
	v_and_b32_e32 v17, 0xffff, v19
	v_or_b32_e32 v20, 0x10000, v19
	s_delay_alu instid0(VALU_DEP_2) | instskip(NEXT) | instid1(VALU_DEP_2)
	v_cmp_eq_u32_e32 vcc_lo, 0, v17
	v_cndmask_b32_e32 v17, v20, v19, vcc_lo
; %bb.123:                              ;   in Loop: Header=BB16_3 Depth=1
	s_or_b32 exec_lo, exec_lo, s0
	v_and_b32_e32 v8, 0xffff0000, v8
	v_and_b32_e32 v18, 0xffff0000, v18
	s_delay_alu instid0(VALU_DEP_1) | instskip(NEXT) | instid1(VALU_DEP_1)
	v_mul_f32_e32 v18, v8, v18
	v_and_b32_e32 v8, 0x7f800000, v18
	s_delay_alu instid0(VALU_DEP_1) | instskip(SKIP_1) | instid1(SALU_CYCLE_1)
	v_cmp_ne_u32_e32 vcc_lo, 0x7f800000, v8
                                        ; implicit-def: $vgpr8
	s_and_saveexec_b32 s0, vcc_lo
	s_xor_b32 s0, exec_lo, s0
; %bb.124:                              ;   in Loop: Header=BB16_3 Depth=1
	v_bfe_u32 v8, v18, 16, 1
	s_delay_alu instid0(VALU_DEP_1)
	v_add3_u32 v8, v18, v8, 0x7fff
                                        ; implicit-def: $vgpr18
; %bb.125:                              ;   in Loop: Header=BB16_3 Depth=1
	s_and_not1_saveexec_b32 s0, s0
; %bb.126:                              ;   in Loop: Header=BB16_3 Depth=1
	v_and_b32_e32 v8, 0xffff, v18
	v_or_b32_e32 v19, 0x10000, v18
	s_delay_alu instid0(VALU_DEP_2) | instskip(NEXT) | instid1(VALU_DEP_2)
	v_cmp_eq_u32_e32 vcc_lo, 0, v8
	v_cndmask_b32_e32 v8, v19, v18, vcc_lo
; %bb.127:                              ;   in Loop: Header=BB16_3 Depth=1
	s_or_b32 exec_lo, exec_lo, s0
	v_and_b32_e32 v17, 0xffff0000, v17
	v_and_b32_e32 v4, 0xffff0000, v4
	s_delay_alu instid0(VALU_DEP_1) | instskip(NEXT) | instid1(VALU_DEP_1)
	v_mul_f32_e32 v17, v4, v17
	v_and_b32_e32 v4, 0x7f800000, v17
	s_delay_alu instid0(VALU_DEP_1) | instskip(SKIP_1) | instid1(SALU_CYCLE_1)
	v_cmp_ne_u32_e32 vcc_lo, 0x7f800000, v4
                                        ; implicit-def: $vgpr4
	s_and_saveexec_b32 s0, vcc_lo
	s_xor_b32 s0, exec_lo, s0
; %bb.128:                              ;   in Loop: Header=BB16_3 Depth=1
	v_bfe_u32 v4, v17, 16, 1
	s_delay_alu instid0(VALU_DEP_1)
	v_add3_u32 v4, v17, v4, 0x7fff
                                        ; implicit-def: $vgpr17
; %bb.129:                              ;   in Loop: Header=BB16_3 Depth=1
	s_and_not1_saveexec_b32 s0, s0
	s_cbranch_execz .LBB16_2
; %bb.130:                              ;   in Loop: Header=BB16_3 Depth=1
	v_and_b32_e32 v4, 0xffff, v17
	v_or_b32_e32 v18, 0x10000, v17
	s_delay_alu instid0(VALU_DEP_2) | instskip(NEXT) | instid1(VALU_DEP_2)
	v_cmp_eq_u32_e32 vcc_lo, 0, v4
	v_cndmask_b32_e32 v4, v18, v17, vcc_lo
	s_branch .LBB16_2
.LBB16_131:
	s_nop 0
	s_sendmsg sendmsg(MSG_DEALLOC_VGPRS)
	s_endpgm
	.section	.rodata,"a",@progbits
	.p2align	6, 0x0
	.amdhsa_kernel _ZN4vllm18act_and_mul_kernelIN3c108BFloat16E15__hip_bfloat162TnPFT_RKS4_EXadL_ZNS_11silu_kernelIS2_EES4_S6_EETnPFT0_RKSA_EXadL_ZNS_18packed_silu_kernelIS3_EES4_S6_EELb1ELb1ELb1ELb0EEEvPS4_PS5_if
		.amdhsa_group_segment_fixed_size 0
		.amdhsa_private_segment_fixed_size 0
		.amdhsa_kernarg_size 280
		.amdhsa_user_sgpr_count 15
		.amdhsa_user_sgpr_dispatch_ptr 0
		.amdhsa_user_sgpr_queue_ptr 0
		.amdhsa_user_sgpr_kernarg_segment_ptr 1
		.amdhsa_user_sgpr_dispatch_id 0
		.amdhsa_user_sgpr_private_segment_size 0
		.amdhsa_wavefront_size32 1
		.amdhsa_uses_dynamic_stack 0
		.amdhsa_enable_private_segment 0
		.amdhsa_system_sgpr_workgroup_id_x 1
		.amdhsa_system_sgpr_workgroup_id_y 0
		.amdhsa_system_sgpr_workgroup_id_z 0
		.amdhsa_system_sgpr_workgroup_info 0
		.amdhsa_system_vgpr_workitem_id 0
		.amdhsa_next_free_vgpr 25
		.amdhsa_next_free_sgpr 20
		.amdhsa_reserve_vcc 1
		.amdhsa_float_round_mode_32 0
		.amdhsa_float_round_mode_16_64 0
		.amdhsa_float_denorm_mode_32 3
		.amdhsa_float_denorm_mode_16_64 3
		.amdhsa_dx10_clamp 1
		.amdhsa_ieee_mode 1
		.amdhsa_fp16_overflow 0
		.amdhsa_workgroup_processor_mode 1
		.amdhsa_memory_ordered 1
		.amdhsa_forward_progress 0
		.amdhsa_shared_vgpr_count 0
		.amdhsa_exception_fp_ieee_invalid_op 0
		.amdhsa_exception_fp_denorm_src 0
		.amdhsa_exception_fp_ieee_div_zero 0
		.amdhsa_exception_fp_ieee_overflow 0
		.amdhsa_exception_fp_ieee_underflow 0
		.amdhsa_exception_fp_ieee_inexact 0
		.amdhsa_exception_int_div_zero 0
	.end_amdhsa_kernel
	.section	.text._ZN4vllm18act_and_mul_kernelIN3c108BFloat16E15__hip_bfloat162TnPFT_RKS4_EXadL_ZNS_11silu_kernelIS2_EES4_S6_EETnPFT0_RKSA_EXadL_ZNS_18packed_silu_kernelIS3_EES4_S6_EELb1ELb1ELb1ELb0EEEvPS4_PS5_if,"axG",@progbits,_ZN4vllm18act_and_mul_kernelIN3c108BFloat16E15__hip_bfloat162TnPFT_RKS4_EXadL_ZNS_11silu_kernelIS2_EES4_S6_EETnPFT0_RKSA_EXadL_ZNS_18packed_silu_kernelIS3_EES4_S6_EELb1ELb1ELb1ELb0EEEvPS4_PS5_if,comdat
.Lfunc_end16:
	.size	_ZN4vllm18act_and_mul_kernelIN3c108BFloat16E15__hip_bfloat162TnPFT_RKS4_EXadL_ZNS_11silu_kernelIS2_EES4_S6_EETnPFT0_RKSA_EXadL_ZNS_18packed_silu_kernelIS3_EES4_S6_EELb1ELb1ELb1ELb0EEEvPS4_PS5_if, .Lfunc_end16-_ZN4vllm18act_and_mul_kernelIN3c108BFloat16E15__hip_bfloat162TnPFT_RKS4_EXadL_ZNS_11silu_kernelIS2_EES4_S6_EETnPFT0_RKSA_EXadL_ZNS_18packed_silu_kernelIS3_EES4_S6_EELb1ELb1ELb1ELb0EEEvPS4_PS5_if
                                        ; -- End function
	.section	.AMDGPU.csdata,"",@progbits
; Kernel info:
; codeLenInByte = 5472
; NumSgprs: 22
; NumVgprs: 25
; ScratchSize: 0
; MemoryBound: 0
; FloatMode: 240
; IeeeMode: 1
; LDSByteSize: 0 bytes/workgroup (compile time only)
; SGPRBlocks: 2
; VGPRBlocks: 3
; NumSGPRsForWavesPerEU: 22
; NumVGPRsForWavesPerEU: 25
; Occupancy: 16
; WaveLimiterHint : 0
; COMPUTE_PGM_RSRC2:SCRATCH_EN: 0
; COMPUTE_PGM_RSRC2:USER_SGPR: 15
; COMPUTE_PGM_RSRC2:TRAP_HANDLER: 0
; COMPUTE_PGM_RSRC2:TGID_X_EN: 1
; COMPUTE_PGM_RSRC2:TGID_Y_EN: 0
; COMPUTE_PGM_RSRC2:TGID_Z_EN: 0
; COMPUTE_PGM_RSRC2:TIDIG_COMP_CNT: 0
	.section	.text._ZN4vllm18act_and_mul_kernelIf15HIP_vector_typeIfLj2EETnPFT_RKS3_EXadL_ZNS_11silu_kernelIfEES3_S5_EETnPFT0_RKS9_EXadL_ZNS_18packed_silu_kernelIS2_EES3_S5_EELb1ELb0ELb1ELb0EEEvPS3_PS4_if,"axG",@progbits,_ZN4vllm18act_and_mul_kernelIf15HIP_vector_typeIfLj2EETnPFT_RKS3_EXadL_ZNS_11silu_kernelIfEES3_S5_EETnPFT0_RKS9_EXadL_ZNS_18packed_silu_kernelIS2_EES3_S5_EELb1ELb0ELb1ELb0EEEvPS3_PS4_if,comdat
	.protected	_ZN4vllm18act_and_mul_kernelIf15HIP_vector_typeIfLj2EETnPFT_RKS3_EXadL_ZNS_11silu_kernelIfEES3_S5_EETnPFT0_RKS9_EXadL_ZNS_18packed_silu_kernelIS2_EES3_S5_EELb1ELb0ELb1ELb0EEEvPS3_PS4_if ; -- Begin function _ZN4vllm18act_and_mul_kernelIf15HIP_vector_typeIfLj2EETnPFT_RKS3_EXadL_ZNS_11silu_kernelIfEES3_S5_EETnPFT0_RKS9_EXadL_ZNS_18packed_silu_kernelIS2_EES3_S5_EELb1ELb0ELb1ELb0EEEvPS3_PS4_if
	.globl	_ZN4vllm18act_and_mul_kernelIf15HIP_vector_typeIfLj2EETnPFT_RKS3_EXadL_ZNS_11silu_kernelIfEES3_S5_EETnPFT0_RKS9_EXadL_ZNS_18packed_silu_kernelIS2_EES3_S5_EELb1ELb0ELb1ELb0EEEvPS3_PS4_if
	.p2align	8
	.type	_ZN4vllm18act_and_mul_kernelIf15HIP_vector_typeIfLj2EETnPFT_RKS3_EXadL_ZNS_11silu_kernelIfEES3_S5_EETnPFT0_RKS9_EXadL_ZNS_18packed_silu_kernelIS2_EES3_S5_EELb1ELb0ELb1ELb0EEEvPS3_PS4_if,@function
_ZN4vllm18act_and_mul_kernelIf15HIP_vector_typeIfLj2EETnPFT_RKS3_EXadL_ZNS_11silu_kernelIfEES3_S5_EETnPFT0_RKS9_EXadL_ZNS_18packed_silu_kernelIS2_EES3_S5_EELb1ELb0ELb1ELb0EEEvPS3_PS4_if: ; @_ZN4vllm18act_and_mul_kernelIf15HIP_vector_typeIfLj2EETnPFT_RKS3_EXadL_ZNS_11silu_kernelIfEES3_S5_EETnPFT0_RKS9_EXadL_ZNS_18packed_silu_kernelIS2_EES3_S5_EELb1ELb0ELb1ELb0EEEvPS3_PS4_if
; %bb.0:
	s_load_b64 s[8:9], s[0:1], 0x10
	s_mov_b32 s2, exec_lo
	s_waitcnt lgkmcnt(0)
	v_cmpx_gt_i32_e64 s8, v0
	s_cbranch_execz .LBB17_3
; %bb.1:
	s_clause 0x1
	s_load_b128 s[4:7], s[0:1], 0x0
	s_load_b32 s14, s[0:1], 0x24
	s_mul_i32 s10, s15, s8
	s_mov_b32 s1, 0
	s_lshl_b32 s0, s10, 1
	s_mov_b32 s2, s8
	s_lshl_b64 s[12:13], s[0:1], 2
	v_dual_mov_b32 v1, 0 :: v_dual_lshlrev_b32 v2, 2, v0
	v_max_f32_e64 v3, s9, s9
	v_max_f32_e64 v4, -s9, -s9
	s_mov_b32 s11, s1
	s_delay_alu instid0(VALU_DEP_3) | instskip(SKIP_4) | instid1(SALU_CYCLE_1)
	v_mov_b32_e32 v5, v1
	s_waitcnt lgkmcnt(0)
	s_add_u32 s6, s6, s12
	s_addc_u32 s7, s7, s13
	s_ashr_i32 s3, s8, 31
	s_lshl_b64 s[8:9], s[2:3], 2
	s_delay_alu instid0(SALU_CYCLE_1) | instskip(SKIP_2) | instid1(SALU_CYCLE_1)
	s_add_u32 s8, s6, s8
	s_addc_u32 s9, s7, s9
	s_lshl_b64 s[10:11], s[10:11], 2
	s_add_u32 s4, s4, s10
	s_addc_u32 s5, s5, s11
	s_and_b32 s10, s14, 0xffff
	s_delay_alu instid0(SALU_CYCLE_1)
	s_lshl_b32 s11, s10, 2
.LBB17_2:                               ; =>This Inner Loop Header: Depth=1
	v_add_co_u32 v6, vcc_lo, s6, v2
	v_add_co_ci_u32_e32 v7, vcc_lo, s7, v5, vcc_lo
	v_add_co_u32 v0, s0, v0, s10
	s_delay_alu instid0(VALU_DEP_1)
	v_add_co_ci_u32_e64 v1, s0, 0, v1, s0
	global_load_b32 v8, v[6:7], off
	v_add_co_u32 v6, vcc_lo, s8, v2
	v_add_co_ci_u32_e32 v7, vcc_lo, s9, v5, vcc_lo
	global_load_b32 v7, v[6:7], off
	s_waitcnt vmcnt(1)
	v_max_f32_e32 v6, v8, v8
	s_delay_alu instid0(VALU_DEP_1) | instskip(NEXT) | instid1(VALU_DEP_1)
	v_min_f32_e32 v8, v6, v3
	v_mul_f32_e32 v6, 0xbfb8aa3b, v8
	v_cmp_nlt_f32_e32 vcc_lo, 0x42ce8ed0, v8
	s_delay_alu instid0(VALU_DEP_2) | instskip(SKIP_1) | instid1(VALU_DEP_1)
	v_fma_f32 v9, 0xbfb8aa3b, v8, -v6
	v_rndne_f32_e32 v10, v6
	v_dual_fmac_f32 v9, 0xb2a5705f, v8 :: v_dual_sub_f32 v6, v6, v10
	s_delay_alu instid0(VALU_DEP_1) | instskip(SKIP_1) | instid1(VALU_DEP_2)
	v_add_f32_e32 v6, v6, v9
	v_cvt_i32_f32_e32 v9, v10
	v_exp_f32_e32 v6, v6
	s_waitcnt_depctr 0xfff
	v_ldexp_f32 v6, v6, v9
	s_delay_alu instid0(VALU_DEP_1) | instskip(SKIP_1) | instid1(VALU_DEP_2)
	v_cndmask_b32_e32 v6, 0, v6, vcc_lo
	v_cmp_ngt_f32_e32 vcc_lo, 0xc2b17218, v8
	v_cndmask_b32_e32 v6, 0x7f800000, v6, vcc_lo
	s_delay_alu instid0(VALU_DEP_1) | instskip(NEXT) | instid1(VALU_DEP_1)
	v_add_f32_e32 v9, 1.0, v6
	v_div_scale_f32 v10, null, v9, v9, v8
	v_div_scale_f32 v12, vcc_lo, v8, v9, v8
	s_delay_alu instid0(VALU_DEP_2) | instskip(SKIP_2) | instid1(VALU_DEP_1)
	v_rcp_f32_e32 v11, v10
	s_waitcnt_depctr 0xfff
	v_fma_f32 v6, -v10, v11, 1.0
	v_fmac_f32_e32 v11, v6, v11
	s_delay_alu instid0(VALU_DEP_1) | instskip(NEXT) | instid1(VALU_DEP_1)
	v_mul_f32_e32 v13, v12, v11
	v_fma_f32 v6, -v10, v13, v12
	s_delay_alu instid0(VALU_DEP_1) | instskip(SKIP_1) | instid1(VALU_DEP_2)
	v_fmac_f32_e32 v13, v6, v11
	v_add_co_u32 v6, s0, s4, v2
	v_fma_f32 v10, -v10, v13, v12
	s_waitcnt vmcnt(0)
	v_max_f32_e32 v12, v7, v7
	s_delay_alu instid0(VALU_DEP_2) | instskip(NEXT) | instid1(VALU_DEP_2)
	v_div_fmas_f32 v10, v10, v11, v13
	v_minmax_f32 v11, v12, v3, v4
	v_add_co_ci_u32_e64 v7, vcc_lo, s5, v5, s0
	v_cmp_le_i64_e32 vcc_lo, s[2:3], v[0:1]
	s_delay_alu instid0(VALU_DEP_4) | instskip(SKIP_1) | instid1(VALU_DEP_1)
	v_div_fixup_f32 v8, v10, v9, v8
	v_add_co_u32 v2, s0, v2, s11
	v_add_co_ci_u32_e64 v5, s0, 0, v5, s0
	s_delay_alu instid0(VALU_DEP_3)
	v_mul_f32_e32 v8, v11, v8
	s_or_b32 s1, vcc_lo, s1
	global_store_b32 v[6:7], v8, off
	s_and_not1_b32 exec_lo, exec_lo, s1
	s_cbranch_execnz .LBB17_2
.LBB17_3:
	s_nop 0
	s_sendmsg sendmsg(MSG_DEALLOC_VGPRS)
	s_endpgm
	.section	.rodata,"a",@progbits
	.p2align	6, 0x0
	.amdhsa_kernel _ZN4vllm18act_and_mul_kernelIf15HIP_vector_typeIfLj2EETnPFT_RKS3_EXadL_ZNS_11silu_kernelIfEES3_S5_EETnPFT0_RKS9_EXadL_ZNS_18packed_silu_kernelIS2_EES3_S5_EELb1ELb0ELb1ELb0EEEvPS3_PS4_if
		.amdhsa_group_segment_fixed_size 0
		.amdhsa_private_segment_fixed_size 0
		.amdhsa_kernarg_size 280
		.amdhsa_user_sgpr_count 15
		.amdhsa_user_sgpr_dispatch_ptr 0
		.amdhsa_user_sgpr_queue_ptr 0
		.amdhsa_user_sgpr_kernarg_segment_ptr 1
		.amdhsa_user_sgpr_dispatch_id 0
		.amdhsa_user_sgpr_private_segment_size 0
		.amdhsa_wavefront_size32 1
		.amdhsa_uses_dynamic_stack 0
		.amdhsa_enable_private_segment 0
		.amdhsa_system_sgpr_workgroup_id_x 1
		.amdhsa_system_sgpr_workgroup_id_y 0
		.amdhsa_system_sgpr_workgroup_id_z 0
		.amdhsa_system_sgpr_workgroup_info 0
		.amdhsa_system_vgpr_workitem_id 0
		.amdhsa_next_free_vgpr 14
		.amdhsa_next_free_sgpr 16
		.amdhsa_reserve_vcc 1
		.amdhsa_float_round_mode_32 0
		.amdhsa_float_round_mode_16_64 0
		.amdhsa_float_denorm_mode_32 3
		.amdhsa_float_denorm_mode_16_64 3
		.amdhsa_dx10_clamp 1
		.amdhsa_ieee_mode 1
		.amdhsa_fp16_overflow 0
		.amdhsa_workgroup_processor_mode 1
		.amdhsa_memory_ordered 1
		.amdhsa_forward_progress 0
		.amdhsa_shared_vgpr_count 0
		.amdhsa_exception_fp_ieee_invalid_op 0
		.amdhsa_exception_fp_denorm_src 0
		.amdhsa_exception_fp_ieee_div_zero 0
		.amdhsa_exception_fp_ieee_overflow 0
		.amdhsa_exception_fp_ieee_underflow 0
		.amdhsa_exception_fp_ieee_inexact 0
		.amdhsa_exception_int_div_zero 0
	.end_amdhsa_kernel
	.section	.text._ZN4vllm18act_and_mul_kernelIf15HIP_vector_typeIfLj2EETnPFT_RKS3_EXadL_ZNS_11silu_kernelIfEES3_S5_EETnPFT0_RKS9_EXadL_ZNS_18packed_silu_kernelIS2_EES3_S5_EELb1ELb0ELb1ELb0EEEvPS3_PS4_if,"axG",@progbits,_ZN4vllm18act_and_mul_kernelIf15HIP_vector_typeIfLj2EETnPFT_RKS3_EXadL_ZNS_11silu_kernelIfEES3_S5_EETnPFT0_RKS9_EXadL_ZNS_18packed_silu_kernelIS2_EES3_S5_EELb1ELb0ELb1ELb0EEEvPS3_PS4_if,comdat
.Lfunc_end17:
	.size	_ZN4vllm18act_and_mul_kernelIf15HIP_vector_typeIfLj2EETnPFT_RKS3_EXadL_ZNS_11silu_kernelIfEES3_S5_EETnPFT0_RKS9_EXadL_ZNS_18packed_silu_kernelIS2_EES3_S5_EELb1ELb0ELb1ELb0EEEvPS3_PS4_if, .Lfunc_end17-_ZN4vllm18act_and_mul_kernelIf15HIP_vector_typeIfLj2EETnPFT_RKS3_EXadL_ZNS_11silu_kernelIfEES3_S5_EETnPFT0_RKS9_EXadL_ZNS_18packed_silu_kernelIS2_EES3_S5_EELb1ELb0ELb1ELb0EEEvPS3_PS4_if
                                        ; -- End function
	.section	.AMDGPU.csdata,"",@progbits
; Kernel info:
; codeLenInByte = 536
; NumSgprs: 18
; NumVgprs: 14
; ScratchSize: 0
; MemoryBound: 0
; FloatMode: 240
; IeeeMode: 1
; LDSByteSize: 0 bytes/workgroup (compile time only)
; SGPRBlocks: 2
; VGPRBlocks: 1
; NumSGPRsForWavesPerEU: 18
; NumVGPRsForWavesPerEU: 14
; Occupancy: 16
; WaveLimiterHint : 0
; COMPUTE_PGM_RSRC2:SCRATCH_EN: 0
; COMPUTE_PGM_RSRC2:USER_SGPR: 15
; COMPUTE_PGM_RSRC2:TRAP_HANDLER: 0
; COMPUTE_PGM_RSRC2:TGID_X_EN: 1
; COMPUTE_PGM_RSRC2:TGID_Y_EN: 0
; COMPUTE_PGM_RSRC2:TGID_Z_EN: 0
; COMPUTE_PGM_RSRC2:TIDIG_COMP_CNT: 0
	.section	.text._ZN4vllm18act_and_mul_kernelIN3c104HalfE7__half2TnPFT_RKS4_EXadL_ZNS_11silu_kernelIS2_EES4_S6_EETnPFT0_RKSA_EXadL_ZNS_18packed_silu_kernelIS3_EES4_S6_EELb1ELb0ELb1ELb0EEEvPS4_PS5_if,"axG",@progbits,_ZN4vllm18act_and_mul_kernelIN3c104HalfE7__half2TnPFT_RKS4_EXadL_ZNS_11silu_kernelIS2_EES4_S6_EETnPFT0_RKSA_EXadL_ZNS_18packed_silu_kernelIS3_EES4_S6_EELb1ELb0ELb1ELb0EEEvPS4_PS5_if,comdat
	.protected	_ZN4vllm18act_and_mul_kernelIN3c104HalfE7__half2TnPFT_RKS4_EXadL_ZNS_11silu_kernelIS2_EES4_S6_EETnPFT0_RKSA_EXadL_ZNS_18packed_silu_kernelIS3_EES4_S6_EELb1ELb0ELb1ELb0EEEvPS4_PS5_if ; -- Begin function _ZN4vllm18act_and_mul_kernelIN3c104HalfE7__half2TnPFT_RKS4_EXadL_ZNS_11silu_kernelIS2_EES4_S6_EETnPFT0_RKSA_EXadL_ZNS_18packed_silu_kernelIS3_EES4_S6_EELb1ELb0ELb1ELb0EEEvPS4_PS5_if
	.globl	_ZN4vllm18act_and_mul_kernelIN3c104HalfE7__half2TnPFT_RKS4_EXadL_ZNS_11silu_kernelIS2_EES4_S6_EETnPFT0_RKSA_EXadL_ZNS_18packed_silu_kernelIS3_EES4_S6_EELb1ELb0ELb1ELb0EEEvPS4_PS5_if
	.p2align	8
	.type	_ZN4vllm18act_and_mul_kernelIN3c104HalfE7__half2TnPFT_RKS4_EXadL_ZNS_11silu_kernelIS2_EES4_S6_EETnPFT0_RKSA_EXadL_ZNS_18packed_silu_kernelIS3_EES4_S6_EELb1ELb0ELb1ELb0EEEvPS4_PS5_if,@function
_ZN4vllm18act_and_mul_kernelIN3c104HalfE7__half2TnPFT_RKS4_EXadL_ZNS_11silu_kernelIS2_EES4_S6_EETnPFT0_RKSA_EXadL_ZNS_18packed_silu_kernelIS3_EES4_S6_EELb1ELb0ELb1ELb0EEEvPS4_PS5_if: ; @_ZN4vllm18act_and_mul_kernelIN3c104HalfE7__half2TnPFT_RKS4_EXadL_ZNS_11silu_kernelIS2_EES4_S6_EETnPFT0_RKSA_EXadL_ZNS_18packed_silu_kernelIS3_EES4_S6_EELb1ELb0ELb1ELb0EEEvPS4_PS5_if
; %bb.0:
	s_load_b64 s[10:11], s[0:1], 0x10
	s_mov_b32 s2, exec_lo
	s_waitcnt lgkmcnt(0)
	v_cmpx_gt_i32_e64 s10, v0
	s_cbranch_execz .LBB18_12
; %bb.1:
	s_load_b32 s2, s[0:1], 0x24
	s_ashr_i32 s9, s10, 31
	s_mov_b32 s8, s10
	s_waitcnt lgkmcnt(0)
	s_and_b32 s16, s2, 0xffff
	s_delay_alu instid0(SALU_CYCLE_1) | instskip(NEXT) | instid1(VALU_DEP_1)
	v_add_co_u32 v1, s2, v0, s16
	v_add_co_ci_u32_e64 v2, null, 0, 0, s2
	s_delay_alu instid0(VALU_DEP_1) | instskip(SKIP_1) | instid1(VALU_DEP_2)
	v_cmp_gt_i64_e64 s2, s[8:9], v[1:2]
	v_cmp_lt_i64_e32 vcc_lo, s[8:9], v[1:2]
	v_cndmask_b32_e64 v6, 0, 1, s2
	v_cndmask_b32_e32 v3, s9, v2, vcc_lo
	v_cndmask_b32_e32 v4, s8, v1, vcc_lo
	s_mov_b32 s2, exec_lo
	s_delay_alu instid0(VALU_DEP_3) | instskip(SKIP_2) | instid1(VALU_DEP_3)
	v_add_co_u32 v5, vcc_lo, v1, v6
	v_mov_b32_e32 v1, 0
	v_add_co_ci_u32_e32 v2, vcc_lo, 0, v2, vcc_lo
	v_sub_co_u32 v7, vcc_lo, v4, v5
                                        ; implicit-def: $vgpr4_vgpr5
	s_delay_alu instid0(VALU_DEP_2) | instskip(NEXT) | instid1(VALU_DEP_4)
	v_sub_co_ci_u32_e32 v3, vcc_lo, v3, v2, vcc_lo
	v_mov_b32_e32 v2, v1
	s_delay_alu instid0(VALU_DEP_1)
	v_cmpx_ne_u64_e32 0, v[2:3]
	s_xor_b32 s3, exec_lo, s2
	s_cbranch_execz .LBB18_3
; %bb.2:
	v_cvt_f32_u32_e32 v2, s16
	s_sub_u32 s2, 0, s16
	s_subb_u32 s4, 0, 0
	s_delay_alu instid0(VALU_DEP_1) | instskip(NEXT) | instid1(VALU_DEP_1)
	v_fmamk_f32 v2, 0, 0x4f800000, v2
	v_rcp_f32_e32 v2, v2
	s_waitcnt_depctr 0xfff
	v_mul_f32_e32 v2, 0x5f7ffffc, v2
	s_delay_alu instid0(VALU_DEP_1) | instskip(NEXT) | instid1(VALU_DEP_1)
	v_mul_f32_e32 v4, 0x2f800000, v2
	v_trunc_f32_e32 v4, v4
	s_delay_alu instid0(VALU_DEP_1) | instskip(SKIP_1) | instid1(VALU_DEP_2)
	v_fmamk_f32 v2, v4, 0xcf800000, v2
	v_cvt_u32_f32_e32 v4, v4
	v_cvt_u32_f32_e32 v2, v2
	s_delay_alu instid0(VALU_DEP_2) | instskip(NEXT) | instid1(VALU_DEP_2)
	v_mul_lo_u32 v5, s2, v4
	v_mul_hi_u32 v8, s2, v2
	v_mul_lo_u32 v9, s4, v2
	s_delay_alu instid0(VALU_DEP_2) | instskip(SKIP_1) | instid1(VALU_DEP_2)
	v_add_nc_u32_e32 v5, v8, v5
	v_mul_lo_u32 v8, s2, v2
	v_add_nc_u32_e32 v5, v5, v9
	s_delay_alu instid0(VALU_DEP_2) | instskip(NEXT) | instid1(VALU_DEP_2)
	v_mul_hi_u32 v9, v2, v8
	v_mul_lo_u32 v10, v2, v5
	v_mul_hi_u32 v11, v2, v5
	v_mul_hi_u32 v12, v4, v8
	v_mul_lo_u32 v8, v4, v8
	v_mul_hi_u32 v13, v4, v5
	v_mul_lo_u32 v5, v4, v5
	v_add_co_u32 v9, vcc_lo, v9, v10
	v_add_co_ci_u32_e32 v10, vcc_lo, 0, v11, vcc_lo
	s_delay_alu instid0(VALU_DEP_2) | instskip(NEXT) | instid1(VALU_DEP_2)
	v_add_co_u32 v8, vcc_lo, v9, v8
	v_add_co_ci_u32_e32 v8, vcc_lo, v10, v12, vcc_lo
	v_add_co_ci_u32_e32 v9, vcc_lo, 0, v13, vcc_lo
	s_delay_alu instid0(VALU_DEP_2) | instskip(NEXT) | instid1(VALU_DEP_2)
	v_add_co_u32 v5, vcc_lo, v8, v5
	v_add_co_ci_u32_e32 v8, vcc_lo, 0, v9, vcc_lo
	s_delay_alu instid0(VALU_DEP_2) | instskip(NEXT) | instid1(VALU_DEP_2)
	v_add_co_u32 v2, vcc_lo, v2, v5
	v_add_co_ci_u32_e32 v4, vcc_lo, v4, v8, vcc_lo
	s_delay_alu instid0(VALU_DEP_2) | instskip(SKIP_1) | instid1(VALU_DEP_3)
	v_mul_hi_u32 v5, s2, v2
	v_mul_lo_u32 v9, s4, v2
	v_mul_lo_u32 v8, s2, v4
	s_delay_alu instid0(VALU_DEP_1) | instskip(SKIP_1) | instid1(VALU_DEP_2)
	v_add_nc_u32_e32 v5, v5, v8
	v_mul_lo_u32 v8, s2, v2
	v_add_nc_u32_e32 v5, v5, v9
	s_delay_alu instid0(VALU_DEP_2) | instskip(NEXT) | instid1(VALU_DEP_2)
	v_mul_hi_u32 v9, v2, v8
	v_mul_lo_u32 v10, v2, v5
	v_mul_hi_u32 v11, v2, v5
	v_mul_hi_u32 v12, v4, v8
	v_mul_lo_u32 v8, v4, v8
	v_mul_hi_u32 v13, v4, v5
	v_mul_lo_u32 v5, v4, v5
	v_add_co_u32 v9, vcc_lo, v9, v10
	v_add_co_ci_u32_e32 v10, vcc_lo, 0, v11, vcc_lo
	s_delay_alu instid0(VALU_DEP_2) | instskip(NEXT) | instid1(VALU_DEP_2)
	v_add_co_u32 v8, vcc_lo, v9, v8
	v_add_co_ci_u32_e32 v8, vcc_lo, v10, v12, vcc_lo
	v_add_co_ci_u32_e32 v9, vcc_lo, 0, v13, vcc_lo
	s_delay_alu instid0(VALU_DEP_2) | instskip(NEXT) | instid1(VALU_DEP_2)
	v_add_co_u32 v5, vcc_lo, v8, v5
	v_add_co_ci_u32_e32 v8, vcc_lo, 0, v9, vcc_lo
	s_delay_alu instid0(VALU_DEP_2) | instskip(NEXT) | instid1(VALU_DEP_2)
	v_add_co_u32 v2, vcc_lo, v2, v5
	v_add_co_ci_u32_e32 v12, vcc_lo, v4, v8, vcc_lo
	s_delay_alu instid0(VALU_DEP_2) | instskip(SKIP_1) | instid1(VALU_DEP_3)
	v_mul_hi_u32 v13, v7, v2
	v_mad_u64_u32 v[8:9], null, v3, v2, 0
	v_mad_u64_u32 v[4:5], null, v7, v12, 0
	;; [unrolled: 1-line block ×3, first 2 shown]
	s_delay_alu instid0(VALU_DEP_2) | instskip(NEXT) | instid1(VALU_DEP_3)
	v_add_co_u32 v2, vcc_lo, v13, v4
	v_add_co_ci_u32_e32 v4, vcc_lo, 0, v5, vcc_lo
	s_delay_alu instid0(VALU_DEP_2) | instskip(NEXT) | instid1(VALU_DEP_2)
	v_add_co_u32 v2, vcc_lo, v2, v8
	v_add_co_ci_u32_e32 v2, vcc_lo, v4, v9, vcc_lo
	v_add_co_ci_u32_e32 v4, vcc_lo, 0, v11, vcc_lo
	s_delay_alu instid0(VALU_DEP_2) | instskip(NEXT) | instid1(VALU_DEP_2)
	v_add_co_u32 v10, vcc_lo, v2, v10
	v_add_co_ci_u32_e32 v11, vcc_lo, 0, v4, vcc_lo
	s_delay_alu instid0(VALU_DEP_2) | instskip(NEXT) | instid1(VALU_DEP_1)
	v_mad_u64_u32 v[4:5], null, s16, v10, 0
	v_mov_b32_e32 v2, v5
	s_delay_alu instid0(VALU_DEP_1) | instskip(NEXT) | instid1(VALU_DEP_3)
	v_mad_u64_u32 v[8:9], null, s16, v11, v[2:3]
	v_sub_co_u32 v2, vcc_lo, v7, v4
	s_delay_alu instid0(VALU_DEP_2) | instskip(NEXT) | instid1(VALU_DEP_2)
	v_sub_co_ci_u32_e32 v3, vcc_lo, v3, v8, vcc_lo
	v_sub_co_u32 v4, vcc_lo, v2, s16
	s_delay_alu instid0(VALU_DEP_2) | instskip(NEXT) | instid1(VALU_DEP_2)
	v_subrev_co_ci_u32_e32 v5, vcc_lo, 0, v3, vcc_lo
	v_cmp_le_u32_e32 vcc_lo, s16, v4
	v_cmp_eq_u32_e64 s2, 0, v3
	v_cndmask_b32_e64 v4, 0, -1, vcc_lo
	v_add_co_u32 v7, vcc_lo, v10, 2
	v_add_co_ci_u32_e32 v8, vcc_lo, 0, v11, vcc_lo
	v_cmp_le_u32_e32 vcc_lo, s16, v2
	v_cndmask_b32_e64 v2, 0, -1, vcc_lo
	v_cmp_eq_u32_e32 vcc_lo, 0, v5
	s_delay_alu instid0(VALU_DEP_2) | instskip(SKIP_3) | instid1(VALU_DEP_3)
	v_cndmask_b32_e64 v2, -1, v2, s2
	v_cndmask_b32_e32 v4, -1, v4, vcc_lo
	v_add_co_u32 v5, vcc_lo, v10, 1
	v_add_co_ci_u32_e32 v9, vcc_lo, 0, v11, vcc_lo
	v_cmp_ne_u32_e32 vcc_lo, 0, v4
	s_delay_alu instid0(VALU_DEP_2) | instskip(NEXT) | instid1(VALU_DEP_4)
	v_cndmask_b32_e32 v3, v9, v8, vcc_lo
	v_cndmask_b32_e32 v4, v5, v7, vcc_lo
	v_cmp_ne_u32_e32 vcc_lo, 0, v2
                                        ; implicit-def: $vgpr7
	s_delay_alu instid0(VALU_DEP_2)
	v_dual_cndmask_b32 v5, v11, v3 :: v_dual_cndmask_b32 v4, v10, v4
.LBB18_3:
	s_or_saveexec_b32 s2, s3
	s_load_b128 s[4:7], s[0:1], 0x0
	s_xor_b32 exec_lo, exec_lo, s2
	s_cbranch_execz .LBB18_5
; %bb.4:
	v_cvt_f32_u32_e32 v2, s16
	s_sub_i32 s0, 0, s16
	s_delay_alu instid0(VALU_DEP_1) | instskip(SKIP_2) | instid1(VALU_DEP_1)
	v_rcp_iflag_f32_e32 v2, v2
	s_waitcnt_depctr 0xfff
	v_mul_f32_e32 v2, 0x4f7ffffe, v2
	v_cvt_u32_f32_e32 v2, v2
	s_delay_alu instid0(VALU_DEP_1) | instskip(NEXT) | instid1(VALU_DEP_1)
	v_mul_lo_u32 v3, s0, v2
	v_mul_hi_u32 v3, v2, v3
	s_delay_alu instid0(VALU_DEP_1) | instskip(NEXT) | instid1(VALU_DEP_1)
	v_add_nc_u32_e32 v2, v2, v3
	v_mul_hi_u32 v2, v7, v2
	s_delay_alu instid0(VALU_DEP_1) | instskip(SKIP_1) | instid1(VALU_DEP_2)
	v_mul_lo_u32 v3, v2, s16
	v_add_nc_u32_e32 v4, 1, v2
	v_sub_nc_u32_e32 v3, v7, v3
	s_delay_alu instid0(VALU_DEP_1) | instskip(SKIP_1) | instid1(VALU_DEP_2)
	v_subrev_nc_u32_e32 v5, s16, v3
	v_cmp_le_u32_e32 vcc_lo, s16, v3
	v_cndmask_b32_e32 v3, v3, v5, vcc_lo
	v_dual_mov_b32 v5, 0 :: v_dual_cndmask_b32 v2, v2, v4
	s_delay_alu instid0(VALU_DEP_2) | instskip(NEXT) | instid1(VALU_DEP_2)
	v_cmp_le_u32_e32 vcc_lo, s16, v3
	v_add_nc_u32_e32 v4, 1, v2
	s_delay_alu instid0(VALU_DEP_1)
	v_cndmask_b32_e32 v4, v2, v4, vcc_lo
.LBB18_5:
	s_or_b32 exec_lo, exec_lo, s2
	s_delay_alu instid0(VALU_DEP_1) | instskip(SKIP_2) | instid1(VALU_DEP_3)
	v_add_co_u32 v2, vcc_lo, v4, v6
	v_add_co_ci_u32_e32 v3, vcc_lo, 0, v5, vcc_lo
	v_cmp_eq_u16_e64 s0, s16, 1
	v_add_co_u32 v2, vcc_lo, v2, 1
	s_delay_alu instid0(VALU_DEP_3) | instskip(SKIP_3) | instid1(VALU_DEP_1)
	v_add_co_ci_u32_e32 v3, vcc_lo, 0, v3, vcc_lo
	s_mul_i32 s2, s15, s10
	s_mov_b32 s13, 0
	s_lshl_b32 s12, s2, 1
	v_cmp_lt_u64_e32 vcc_lo, 1, v[2:3]
	s_mov_b32 s3, s13
	s_and_b32 s1, vcc_lo, s0
	s_mov_b32 s0, -1
	s_and_saveexec_b32 s10, s1
	s_cbranch_execz .LBB18_9
; %bb.6:
	v_lshlrev_b32_e32 v6, 1, v0
	s_lshl_b64 s[0:1], s[12:13], 1
	s_xor_b32 s19, s11, 0x80000000
	s_waitcnt lgkmcnt(0)
	s_add_u32 s0, s6, s0
	s_addc_u32 s1, s7, s1
	v_add_co_u32 v8, s0, s0, v6
	s_delay_alu instid0(VALU_DEP_1)
	v_add_co_ci_u32_e64 v9, null, s1, 0, s0
	s_lshl_b64 s[0:1], s[8:9], 1
	s_lshl_b64 s[14:15], s[2:3], 1
	v_dual_mov_b32 v5, v3 :: v_dual_and_b32 v4, -2, v2
	s_lshl_b32 s17, s16, 2
	v_add_co_u32 v10, vcc_lo, v8, s0
	s_add_u32 s0, s4, s14
	s_mov_b32 s18, s11
	s_mov_b32 s20, s19
	v_add_co_ci_u32_e32 v11, vcc_lo, s1, v9, vcc_lo
	s_addc_u32 s1, s5, s15
	v_add_co_u32 v12, s0, s0, v6
	s_delay_alu instid0(VALU_DEP_1)
	v_add_co_ci_u32_e64 v13, null, s1, 0, s0
	v_max_f32_e64 v14, s18, s18
	v_max_f32_e64 v15, s11, s11
	;; [unrolled: 1-line block ×4, first 2 shown]
	v_dual_mov_b32 v7, v5 :: v_dual_mov_b32 v6, v4
	s_mov_b64 s[14:15], 0
	s_mov_b32 s18, 0x3fb8aa3b
	s_mov_b32 s20, 0x32a5705f
	;; [unrolled: 1-line block ×3, first 2 shown]
.LBB18_7:                               ; =>This Inner Loop Header: Depth=1
	v_add_co_u32 v18, vcc_lo, v8, s14
	v_add_co_ci_u32_e32 v19, vcc_lo, s15, v9, vcc_lo
	v_add_co_u32 v20, vcc_lo, v10, s14
	v_add_co_ci_u32_e32 v21, vcc_lo, s15, v11, vcc_lo
	v_add_co_u32 v6, s0, v6, -2
	s_clause 0x1
	global_load_b32 v18, v[18:19], off
	global_load_b32 v19, v[20:21], off
	s_waitcnt vmcnt(1)
	v_lshrrev_b32_e32 v20, 16, v18
	v_cvt_f32_f16_e32 v18, v18
	s_waitcnt vmcnt(0)
	v_cvt_f32_f16_e32 v21, v19
	v_lshrrev_b32_e32 v19, 16, v19
	v_cvt_f32_f16_e32 v20, v20
	s_delay_alu instid0(VALU_DEP_3) | instskip(NEXT) | instid1(VALU_DEP_3)
	v_minmax_f32 v21, v21, v14, v17
	v_cvt_f32_f16_e32 v19, v19
	s_delay_alu instid0(VALU_DEP_3) | instskip(NEXT) | instid1(VALU_DEP_3)
	v_min_f32_e32 v20, v20, v15
	v_cvt_f16_f32_e32 v21, v21
	s_delay_alu instid0(VALU_DEP_3) | instskip(NEXT) | instid1(VALU_DEP_3)
	v_minmax_f32 v19, v19, v15, v16
	v_cvt_f16_f32_e32 v20, v20
	s_delay_alu instid0(VALU_DEP_2) | instskip(NEXT) | instid1(VALU_DEP_2)
	v_cvt_f16_f32_e32 v19, v19
	v_cvt_f32_f16_e64 v24, -v20
	v_min_f32_e32 v18, v18, v14
	v_cvt_f32_f16_e32 v26, v20
	s_delay_alu instid0(VALU_DEP_4) | instskip(NEXT) | instid1(VALU_DEP_4)
	v_pack_b32_f16 v21, v21, v19
	v_mul_f32_e32 v27, 0x3fb8aa3b, v24
	s_delay_alu instid0(VALU_DEP_4) | instskip(SKIP_1) | instid1(VALU_DEP_3)
	v_cvt_f16_f32_e32 v18, v18
	v_cmp_ngt_f32_e64 s1, 0xc2ce8ed0, v24
	v_fma_mix_f32 v30, -v20, s18, -v27 op_sel_hi:[1,0,0]
	s_delay_alu instid0(VALU_DEP_3) | instskip(SKIP_2) | instid1(VALU_DEP_4)
	v_cvt_f32_f16_e64 v22, -v18
	v_rndne_f32_e32 v31, v27
	v_cvt_f32_f16_e32 v23, v18
	v_fma_mix_f32 v20, -v20, s20, v30 op_sel_hi:[1,0,0]
	s_delay_alu instid0(VALU_DEP_4) | instskip(SKIP_1) | instid1(VALU_DEP_2)
	v_mul_f32_e32 v25, 0x3fb8aa3b, v22
	v_cmp_ngt_f32_e32 vcc_lo, 0xc2ce8ed0, v22
	v_fma_mix_f32 v28, -v18, s18, -v25 op_sel_hi:[1,0,0]
	v_rndne_f32_e32 v29, v25
	s_delay_alu instid0(VALU_DEP_2) | instskip(SKIP_1) | instid1(VALU_DEP_3)
	v_fma_mix_f32 v18, -v18, s20, v28 op_sel_hi:[1,0,0]
	v_sub_f32_e32 v27, v27, v31
	v_sub_f32_e32 v25, v25, v29
	v_cvt_i32_f32_e32 v28, v29
	s_delay_alu instid0(VALU_DEP_3) | instskip(NEXT) | instid1(VALU_DEP_3)
	v_add_f32_e32 v20, v27, v20
	v_add_f32_e32 v18, v25, v18
	v_cvt_i32_f32_e32 v25, v31
	s_delay_alu instid0(VALU_DEP_3) | instskip(NEXT) | instid1(VALU_DEP_2)
	v_exp_f32_e32 v20, v20
	v_exp_f32_e32 v18, v18
	s_waitcnt_depctr 0xfff
	v_ldexp_f32 v20, v20, v25
	v_ldexp_f32 v18, v18, v28
	s_delay_alu instid0(VALU_DEP_2) | instskip(NEXT) | instid1(VALU_DEP_2)
	v_cndmask_b32_e64 v20, 0, v20, s1
	v_cndmask_b32_e32 v18, 0, v18, vcc_lo
	v_cmp_nlt_f32_e32 vcc_lo, 0x42b17218, v22
	s_delay_alu instid0(VALU_DEP_2) | instskip(SKIP_2) | instid1(VALU_DEP_1)
	v_cndmask_b32_e32 v18, 0x7f800000, v18, vcc_lo
	v_cmp_nlt_f32_e32 vcc_lo, 0x42b17218, v24
	v_cndmask_b32_e32 v20, 0x7f800000, v20, vcc_lo
	v_add_f32_e32 v20, 1.0, v20
	s_delay_alu instid0(VALU_DEP_1) | instskip(SKIP_1) | instid1(VALU_DEP_2)
	v_div_scale_f32 v25, null, v20, v20, v26
	v_div_scale_f32 v29, vcc_lo, v26, v20, v26
	v_rcp_f32_e32 v27, v25
	s_waitcnt_depctr 0xfff
	v_fma_f32 v31, -v25, v27, 1.0
	s_delay_alu instid0(VALU_DEP_1) | instskip(NEXT) | instid1(VALU_DEP_1)
	v_fmac_f32_e32 v27, v31, v27
	v_dual_mul_f32 v31, v29, v27 :: v_dual_add_f32 v18, 1.0, v18
	s_delay_alu instid0(VALU_DEP_1) | instskip(NEXT) | instid1(VALU_DEP_2)
	v_fma_f32 v33, -v25, v31, v29
	v_div_scale_f32 v22, null, v18, v18, v23
	v_div_scale_f32 v24, s1, v23, v18, v23
	s_delay_alu instid0(VALU_DEP_3) | instskip(NEXT) | instid1(VALU_DEP_3)
	v_fmac_f32_e32 v31, v33, v27
	v_rcp_f32_e32 v28, v22
	s_waitcnt_depctr 0xfff
	v_fma_f32 v30, -v22, v28, 1.0
	s_delay_alu instid0(VALU_DEP_1) | instskip(NEXT) | instid1(VALU_DEP_1)
	v_fmac_f32_e32 v28, v30, v28
	v_mul_f32_e32 v30, v24, v28
	s_delay_alu instid0(VALU_DEP_1) | instskip(NEXT) | instid1(VALU_DEP_1)
	v_fma_f32 v32, -v22, v30, v24
	v_fmac_f32_e32 v30, v32, v28
	s_delay_alu instid0(VALU_DEP_1) | instskip(SKIP_1) | instid1(VALU_DEP_1)
	v_fma_f32 v22, -v22, v30, v24
	v_fma_f32 v24, -v25, v31, v29
	v_div_fmas_f32 v24, v24, v27, v31
	s_mov_b32 vcc_lo, s1
	s_delay_alu instid0(VALU_DEP_3) | instskip(SKIP_1) | instid1(VALU_DEP_3)
	v_div_fmas_f32 v22, v22, v28, v30
	v_add_co_ci_u32_e64 v7, vcc_lo, -1, v7, s0
	v_div_fixup_f32 v20, v24, v20, v26
	s_delay_alu instid0(VALU_DEP_3) | instskip(NEXT) | instid1(VALU_DEP_3)
	v_div_fixup_f32 v18, v22, v18, v23
	v_cmp_eq_u64_e64 s0, 0, v[6:7]
	s_delay_alu instid0(VALU_DEP_3) | instskip(NEXT) | instid1(VALU_DEP_3)
	v_cvt_f16_f32_e32 v20, v20
	v_cvt_f16_f32_e32 v18, v18
	s_delay_alu instid0(VALU_DEP_1) | instskip(SKIP_2) | instid1(VALU_DEP_3)
	v_pack_b32_f16 v20, v18, v20
	v_add_co_u32 v18, vcc_lo, v12, s14
	v_add_co_ci_u32_e32 v19, vcc_lo, s15, v13, vcc_lo
	v_pk_mul_f16 v20, v21, v20
	s_add_u32 s14, s14, s17
	s_addc_u32 s15, s15, 0
	s_or_b32 s19, s0, s19
	global_store_b32 v[18:19], v20, off
	s_and_not1_b32 exec_lo, exec_lo, s19
	s_cbranch_execnz .LBB18_7
; %bb.8:
	s_or_b32 exec_lo, exec_lo, s19
	v_mad_u64_u32 v[6:7], null, v4, s16, v[0:1]
	v_cmp_ne_u64_e32 vcc_lo, v[2:3], v[4:5]
	s_or_not1_b32 s0, vcc_lo, exec_lo
	s_delay_alu instid0(VALU_DEP_2) | instskip(NEXT) | instid1(VALU_DEP_1)
	v_mov_b32_e32 v0, v7
	v_mad_u64_u32 v[7:8], null, v5, s16, v[0:1]
	s_delay_alu instid0(VALU_DEP_1)
	v_dual_mov_b32 v0, v6 :: v_dual_mov_b32 v1, v7
.LBB18_9:
	s_or_b32 exec_lo, exec_lo, s10
	s_delay_alu instid0(SALU_CYCLE_1)
	s_and_b32 exec_lo, exec_lo, s0
	s_cbranch_execz .LBB18_12
; %bb.10:
	s_lshl_b64 s[12:13], s[12:13], 1
	v_lshlrev_b64 v[2:3], 1, v[0:1]
	s_waitcnt lgkmcnt(0)
	s_add_u32 s1, s6, s12
	s_addc_u32 s6, s7, s13
	s_lshl_b64 s[12:13], s[8:9], 1
	v_max_f32_e64 v4, s11, s11
	s_add_u32 s7, s1, s12
	s_addc_u32 s10, s6, s13
	s_lshl_b64 s[2:3], s[2:3], 1
	v_max_f32_e64 v5, -s11, -s11
	s_add_u32 s2, s4, s2
	s_addc_u32 s3, s5, s3
	s_lshl_b32 s4, s16, 1
	s_mov_b32 s5, 0
	s_mov_b32 s11, 0x3fb8aa3b
	;; [unrolled: 1-line block ×3, first 2 shown]
.LBB18_11:                              ; =>This Inner Loop Header: Depth=1
	v_add_co_u32 v6, vcc_lo, s1, v2
	v_add_co_ci_u32_e32 v7, vcc_lo, s6, v3, vcc_lo
	v_add_co_u32 v0, s0, v0, s16
	s_delay_alu instid0(VALU_DEP_1)
	v_add_co_ci_u32_e64 v1, s0, 0, v1, s0
	global_load_u16 v8, v[6:7], off
	v_add_co_u32 v6, vcc_lo, s7, v2
	v_add_co_ci_u32_e32 v7, vcc_lo, s10, v3, vcc_lo
	global_load_u16 v6, v[6:7], off
	s_waitcnt vmcnt(1)
	v_cvt_f32_f16_e32 v7, v8
	s_delay_alu instid0(VALU_DEP_1) | instskip(NEXT) | instid1(VALU_DEP_1)
	v_min_f32_e32 v7, v7, v4
	v_cvt_f16_f32_e32 v7, v7
	s_delay_alu instid0(VALU_DEP_1) | instskip(NEXT) | instid1(VALU_DEP_1)
	v_cvt_f32_f16_e64 v8, -v7
	v_mul_f32_e32 v9, 0x3fb8aa3b, v8
	v_cmp_ngt_f32_e32 vcc_lo, 0xc2ce8ed0, v8
	s_delay_alu instid0(VALU_DEP_2) | instskip(SKIP_1) | instid1(VALU_DEP_2)
	v_fma_mix_f32 v10, -v7, s11, -v9 op_sel_hi:[1,0,0]
	v_rndne_f32_e32 v11, v9
	v_fma_mix_f32 v10, -v7, s12, v10 op_sel_hi:[1,0,0]
	s_delay_alu instid0(VALU_DEP_2) | instskip(SKIP_1) | instid1(VALU_DEP_2)
	v_sub_f32_e32 v9, v9, v11
	v_cvt_f32_f16_e32 v7, v7
	v_add_f32_e32 v9, v9, v10
	v_cvt_i32_f32_e32 v10, v11
	s_delay_alu instid0(VALU_DEP_2) | instskip(SKIP_2) | instid1(VALU_DEP_1)
	v_exp_f32_e32 v9, v9
	s_waitcnt_depctr 0xfff
	v_ldexp_f32 v9, v9, v10
	v_cndmask_b32_e32 v9, 0, v9, vcc_lo
	v_cmp_nlt_f32_e32 vcc_lo, 0x42b17218, v8
	s_delay_alu instid0(VALU_DEP_2) | instskip(NEXT) | instid1(VALU_DEP_1)
	v_cndmask_b32_e32 v8, 0x7f800000, v9, vcc_lo
	v_add_f32_e32 v8, 1.0, v8
	s_delay_alu instid0(VALU_DEP_1) | instskip(SKIP_1) | instid1(VALU_DEP_2)
	v_div_scale_f32 v9, null, v8, v8, v7
	v_div_scale_f32 v12, vcc_lo, v7, v8, v7
	v_rcp_f32_e32 v10, v9
	s_waitcnt_depctr 0xfff
	v_fma_f32 v11, -v9, v10, 1.0
	s_delay_alu instid0(VALU_DEP_1) | instskip(NEXT) | instid1(VALU_DEP_1)
	v_fmac_f32_e32 v10, v11, v10
	v_mul_f32_e32 v11, v12, v10
	s_delay_alu instid0(VALU_DEP_1) | instskip(NEXT) | instid1(VALU_DEP_1)
	v_fma_f32 v13, -v9, v11, v12
	v_fmac_f32_e32 v11, v13, v10
	s_delay_alu instid0(VALU_DEP_1) | instskip(SKIP_2) | instid1(VALU_DEP_2)
	v_fma_f32 v9, -v9, v11, v12
	s_waitcnt vmcnt(0)
	v_cvt_f32_f16_e32 v12, v6
	v_div_fmas_f32 v9, v9, v10, v11
	s_delay_alu instid0(VALU_DEP_2) | instskip(SKIP_2) | instid1(VALU_DEP_4)
	v_minmax_f32 v10, v12, v4, v5
	v_add_co_u32 v6, vcc_lo, s2, v2
	v_add_co_u32 v2, s0, v2, s4
	v_div_fixup_f32 v8, v9, v8, v7
	s_delay_alu instid0(VALU_DEP_4) | instskip(SKIP_2) | instid1(VALU_DEP_4)
	v_cvt_f16_f32_e32 v9, v10
	v_add_co_ci_u32_e32 v7, vcc_lo, s3, v3, vcc_lo
	v_cmp_le_i64_e32 vcc_lo, s[8:9], v[0:1]
	v_cvt_f16_f32_e32 v8, v8
	v_add_co_ci_u32_e64 v3, s0, 0, v3, s0
	s_delay_alu instid0(VALU_DEP_2)
	v_mul_f16_e32 v8, v9, v8
	s_or_b32 s5, vcc_lo, s5
	global_store_b16 v[6:7], v8, off
	s_and_not1_b32 exec_lo, exec_lo, s5
	s_cbranch_execnz .LBB18_11
.LBB18_12:
	s_nop 0
	s_sendmsg sendmsg(MSG_DEALLOC_VGPRS)
	s_endpgm
	.section	.rodata,"a",@progbits
	.p2align	6, 0x0
	.amdhsa_kernel _ZN4vllm18act_and_mul_kernelIN3c104HalfE7__half2TnPFT_RKS4_EXadL_ZNS_11silu_kernelIS2_EES4_S6_EETnPFT0_RKSA_EXadL_ZNS_18packed_silu_kernelIS3_EES4_S6_EELb1ELb0ELb1ELb0EEEvPS4_PS5_if
		.amdhsa_group_segment_fixed_size 0
		.amdhsa_private_segment_fixed_size 0
		.amdhsa_kernarg_size 280
		.amdhsa_user_sgpr_count 15
		.amdhsa_user_sgpr_dispatch_ptr 0
		.amdhsa_user_sgpr_queue_ptr 0
		.amdhsa_user_sgpr_kernarg_segment_ptr 1
		.amdhsa_user_sgpr_dispatch_id 0
		.amdhsa_user_sgpr_private_segment_size 0
		.amdhsa_wavefront_size32 1
		.amdhsa_uses_dynamic_stack 0
		.amdhsa_enable_private_segment 0
		.amdhsa_system_sgpr_workgroup_id_x 1
		.amdhsa_system_sgpr_workgroup_id_y 0
		.amdhsa_system_sgpr_workgroup_id_z 0
		.amdhsa_system_sgpr_workgroup_info 0
		.amdhsa_system_vgpr_workitem_id 0
		.amdhsa_next_free_vgpr 34
		.amdhsa_next_free_sgpr 21
		.amdhsa_reserve_vcc 1
		.amdhsa_float_round_mode_32 0
		.amdhsa_float_round_mode_16_64 0
		.amdhsa_float_denorm_mode_32 3
		.amdhsa_float_denorm_mode_16_64 3
		.amdhsa_dx10_clamp 1
		.amdhsa_ieee_mode 1
		.amdhsa_fp16_overflow 0
		.amdhsa_workgroup_processor_mode 1
		.amdhsa_memory_ordered 1
		.amdhsa_forward_progress 0
		.amdhsa_shared_vgpr_count 0
		.amdhsa_exception_fp_ieee_invalid_op 0
		.amdhsa_exception_fp_denorm_src 0
		.amdhsa_exception_fp_ieee_div_zero 0
		.amdhsa_exception_fp_ieee_overflow 0
		.amdhsa_exception_fp_ieee_underflow 0
		.amdhsa_exception_fp_ieee_inexact 0
		.amdhsa_exception_int_div_zero 0
	.end_amdhsa_kernel
	.section	.text._ZN4vllm18act_and_mul_kernelIN3c104HalfE7__half2TnPFT_RKS4_EXadL_ZNS_11silu_kernelIS2_EES4_S6_EETnPFT0_RKSA_EXadL_ZNS_18packed_silu_kernelIS3_EES4_S6_EELb1ELb0ELb1ELb0EEEvPS4_PS5_if,"axG",@progbits,_ZN4vllm18act_and_mul_kernelIN3c104HalfE7__half2TnPFT_RKS4_EXadL_ZNS_11silu_kernelIS2_EES4_S6_EETnPFT0_RKSA_EXadL_ZNS_18packed_silu_kernelIS3_EES4_S6_EELb1ELb0ELb1ELb0EEEvPS4_PS5_if,comdat
.Lfunc_end18:
	.size	_ZN4vllm18act_and_mul_kernelIN3c104HalfE7__half2TnPFT_RKS4_EXadL_ZNS_11silu_kernelIS2_EES4_S6_EETnPFT0_RKSA_EXadL_ZNS_18packed_silu_kernelIS3_EES4_S6_EELb1ELb0ELb1ELb0EEEvPS4_PS5_if, .Lfunc_end18-_ZN4vllm18act_and_mul_kernelIN3c104HalfE7__half2TnPFT_RKS4_EXadL_ZNS_11silu_kernelIS2_EES4_S6_EETnPFT0_RKSA_EXadL_ZNS_18packed_silu_kernelIS3_EES4_S6_EELb1ELb0ELb1ELb0EEEvPS4_PS5_if
                                        ; -- End function
	.section	.AMDGPU.csdata,"",@progbits
; Kernel info:
; codeLenInByte = 2472
; NumSgprs: 23
; NumVgprs: 34
; ScratchSize: 0
; MemoryBound: 0
; FloatMode: 240
; IeeeMode: 1
; LDSByteSize: 0 bytes/workgroup (compile time only)
; SGPRBlocks: 2
; VGPRBlocks: 4
; NumSGPRsForWavesPerEU: 23
; NumVGPRsForWavesPerEU: 34
; Occupancy: 16
; WaveLimiterHint : 0
; COMPUTE_PGM_RSRC2:SCRATCH_EN: 0
; COMPUTE_PGM_RSRC2:USER_SGPR: 15
; COMPUTE_PGM_RSRC2:TRAP_HANDLER: 0
; COMPUTE_PGM_RSRC2:TGID_X_EN: 1
; COMPUTE_PGM_RSRC2:TGID_Y_EN: 0
; COMPUTE_PGM_RSRC2:TGID_Z_EN: 0
; COMPUTE_PGM_RSRC2:TIDIG_COMP_CNT: 0
	.section	.text._ZN4vllm18act_and_mul_kernelIN3c108BFloat16E15__hip_bfloat162TnPFT_RKS4_EXadL_ZNS_11silu_kernelIS2_EES4_S6_EETnPFT0_RKSA_EXadL_ZNS_18packed_silu_kernelIS3_EES4_S6_EELb1ELb0ELb1ELb0EEEvPS4_PS5_if,"axG",@progbits,_ZN4vllm18act_and_mul_kernelIN3c108BFloat16E15__hip_bfloat162TnPFT_RKS4_EXadL_ZNS_11silu_kernelIS2_EES4_S6_EETnPFT0_RKSA_EXadL_ZNS_18packed_silu_kernelIS3_EES4_S6_EELb1ELb0ELb1ELb0EEEvPS4_PS5_if,comdat
	.protected	_ZN4vllm18act_and_mul_kernelIN3c108BFloat16E15__hip_bfloat162TnPFT_RKS4_EXadL_ZNS_11silu_kernelIS2_EES4_S6_EETnPFT0_RKSA_EXadL_ZNS_18packed_silu_kernelIS3_EES4_S6_EELb1ELb0ELb1ELb0EEEvPS4_PS5_if ; -- Begin function _ZN4vllm18act_and_mul_kernelIN3c108BFloat16E15__hip_bfloat162TnPFT_RKS4_EXadL_ZNS_11silu_kernelIS2_EES4_S6_EETnPFT0_RKSA_EXadL_ZNS_18packed_silu_kernelIS3_EES4_S6_EELb1ELb0ELb1ELb0EEEvPS4_PS5_if
	.globl	_ZN4vllm18act_and_mul_kernelIN3c108BFloat16E15__hip_bfloat162TnPFT_RKS4_EXadL_ZNS_11silu_kernelIS2_EES4_S6_EETnPFT0_RKSA_EXadL_ZNS_18packed_silu_kernelIS3_EES4_S6_EELb1ELb0ELb1ELb0EEEvPS4_PS5_if
	.p2align	8
	.type	_ZN4vllm18act_and_mul_kernelIN3c108BFloat16E15__hip_bfloat162TnPFT_RKS4_EXadL_ZNS_11silu_kernelIS2_EES4_S6_EETnPFT0_RKSA_EXadL_ZNS_18packed_silu_kernelIS3_EES4_S6_EELb1ELb0ELb1ELb0EEEvPS4_PS5_if,@function
_ZN4vllm18act_and_mul_kernelIN3c108BFloat16E15__hip_bfloat162TnPFT_RKS4_EXadL_ZNS_11silu_kernelIS2_EES4_S6_EETnPFT0_RKSA_EXadL_ZNS_18packed_silu_kernelIS3_EES4_S6_EELb1ELb0ELb1ELb0EEEvPS4_PS5_if: ; @_ZN4vllm18act_and_mul_kernelIN3c108BFloat16E15__hip_bfloat162TnPFT_RKS4_EXadL_ZNS_11silu_kernelIS2_EES4_S6_EETnPFT0_RKSA_EXadL_ZNS_18packed_silu_kernelIS3_EES4_S6_EELb1ELb0ELb1ELb0EEEvPS4_PS5_if
; %bb.0:
	s_load_b64 s[10:11], s[0:1], 0x10
	s_mov_b32 s2, exec_lo
	s_waitcnt lgkmcnt(0)
	v_cmpx_gt_i32_e64 s10, v0
	s_cbranch_execz .LBB19_12
; %bb.1:
	s_load_b32 s2, s[0:1], 0x24
	s_ashr_i32 s9, s10, 31
	s_mov_b32 s8, s10
	s_waitcnt lgkmcnt(0)
	s_and_b32 s16, s2, 0xffff
	s_delay_alu instid0(SALU_CYCLE_1) | instskip(NEXT) | instid1(VALU_DEP_1)
	v_add_co_u32 v1, s2, v0, s16
	v_add_co_ci_u32_e64 v2, null, 0, 0, s2
	s_delay_alu instid0(VALU_DEP_1) | instskip(SKIP_1) | instid1(VALU_DEP_2)
	v_cmp_gt_i64_e64 s2, s[8:9], v[1:2]
	v_cmp_lt_i64_e32 vcc_lo, s[8:9], v[1:2]
	v_cndmask_b32_e64 v6, 0, 1, s2
	v_cndmask_b32_e32 v3, s9, v2, vcc_lo
	v_cndmask_b32_e32 v4, s8, v1, vcc_lo
	s_mov_b32 s2, exec_lo
	s_delay_alu instid0(VALU_DEP_3) | instskip(SKIP_2) | instid1(VALU_DEP_3)
	v_add_co_u32 v5, vcc_lo, v1, v6
	v_mov_b32_e32 v1, 0
	v_add_co_ci_u32_e32 v2, vcc_lo, 0, v2, vcc_lo
	v_sub_co_u32 v7, vcc_lo, v4, v5
                                        ; implicit-def: $vgpr4_vgpr5
	s_delay_alu instid0(VALU_DEP_2) | instskip(NEXT) | instid1(VALU_DEP_4)
	v_sub_co_ci_u32_e32 v3, vcc_lo, v3, v2, vcc_lo
	v_mov_b32_e32 v2, v1
	s_delay_alu instid0(VALU_DEP_1)
	v_cmpx_ne_u64_e32 0, v[2:3]
	s_xor_b32 s3, exec_lo, s2
	s_cbranch_execz .LBB19_3
; %bb.2:
	v_cvt_f32_u32_e32 v2, s16
	s_sub_u32 s2, 0, s16
	s_subb_u32 s4, 0, 0
	s_delay_alu instid0(VALU_DEP_1) | instskip(NEXT) | instid1(VALU_DEP_1)
	v_fmamk_f32 v2, 0, 0x4f800000, v2
	v_rcp_f32_e32 v2, v2
	s_waitcnt_depctr 0xfff
	v_mul_f32_e32 v2, 0x5f7ffffc, v2
	s_delay_alu instid0(VALU_DEP_1) | instskip(NEXT) | instid1(VALU_DEP_1)
	v_mul_f32_e32 v4, 0x2f800000, v2
	v_trunc_f32_e32 v4, v4
	s_delay_alu instid0(VALU_DEP_1) | instskip(SKIP_1) | instid1(VALU_DEP_2)
	v_fmamk_f32 v2, v4, 0xcf800000, v2
	v_cvt_u32_f32_e32 v4, v4
	v_cvt_u32_f32_e32 v2, v2
	s_delay_alu instid0(VALU_DEP_2) | instskip(NEXT) | instid1(VALU_DEP_2)
	v_mul_lo_u32 v5, s2, v4
	v_mul_hi_u32 v8, s2, v2
	v_mul_lo_u32 v9, s4, v2
	s_delay_alu instid0(VALU_DEP_2) | instskip(SKIP_1) | instid1(VALU_DEP_2)
	v_add_nc_u32_e32 v5, v8, v5
	v_mul_lo_u32 v8, s2, v2
	v_add_nc_u32_e32 v5, v5, v9
	s_delay_alu instid0(VALU_DEP_2) | instskip(NEXT) | instid1(VALU_DEP_2)
	v_mul_hi_u32 v9, v2, v8
	v_mul_lo_u32 v10, v2, v5
	v_mul_hi_u32 v11, v2, v5
	v_mul_hi_u32 v12, v4, v8
	v_mul_lo_u32 v8, v4, v8
	v_mul_hi_u32 v13, v4, v5
	v_mul_lo_u32 v5, v4, v5
	v_add_co_u32 v9, vcc_lo, v9, v10
	v_add_co_ci_u32_e32 v10, vcc_lo, 0, v11, vcc_lo
	s_delay_alu instid0(VALU_DEP_2) | instskip(NEXT) | instid1(VALU_DEP_2)
	v_add_co_u32 v8, vcc_lo, v9, v8
	v_add_co_ci_u32_e32 v8, vcc_lo, v10, v12, vcc_lo
	v_add_co_ci_u32_e32 v9, vcc_lo, 0, v13, vcc_lo
	s_delay_alu instid0(VALU_DEP_2) | instskip(NEXT) | instid1(VALU_DEP_2)
	v_add_co_u32 v5, vcc_lo, v8, v5
	v_add_co_ci_u32_e32 v8, vcc_lo, 0, v9, vcc_lo
	s_delay_alu instid0(VALU_DEP_2) | instskip(NEXT) | instid1(VALU_DEP_2)
	v_add_co_u32 v2, vcc_lo, v2, v5
	v_add_co_ci_u32_e32 v4, vcc_lo, v4, v8, vcc_lo
	s_delay_alu instid0(VALU_DEP_2) | instskip(SKIP_1) | instid1(VALU_DEP_3)
	v_mul_hi_u32 v5, s2, v2
	v_mul_lo_u32 v9, s4, v2
	v_mul_lo_u32 v8, s2, v4
	s_delay_alu instid0(VALU_DEP_1) | instskip(SKIP_1) | instid1(VALU_DEP_2)
	v_add_nc_u32_e32 v5, v5, v8
	v_mul_lo_u32 v8, s2, v2
	v_add_nc_u32_e32 v5, v5, v9
	s_delay_alu instid0(VALU_DEP_2) | instskip(NEXT) | instid1(VALU_DEP_2)
	v_mul_hi_u32 v9, v2, v8
	v_mul_lo_u32 v10, v2, v5
	v_mul_hi_u32 v11, v2, v5
	v_mul_hi_u32 v12, v4, v8
	v_mul_lo_u32 v8, v4, v8
	v_mul_hi_u32 v13, v4, v5
	v_mul_lo_u32 v5, v4, v5
	v_add_co_u32 v9, vcc_lo, v9, v10
	v_add_co_ci_u32_e32 v10, vcc_lo, 0, v11, vcc_lo
	s_delay_alu instid0(VALU_DEP_2) | instskip(NEXT) | instid1(VALU_DEP_2)
	v_add_co_u32 v8, vcc_lo, v9, v8
	v_add_co_ci_u32_e32 v8, vcc_lo, v10, v12, vcc_lo
	v_add_co_ci_u32_e32 v9, vcc_lo, 0, v13, vcc_lo
	s_delay_alu instid0(VALU_DEP_2) | instskip(NEXT) | instid1(VALU_DEP_2)
	v_add_co_u32 v5, vcc_lo, v8, v5
	v_add_co_ci_u32_e32 v8, vcc_lo, 0, v9, vcc_lo
	s_delay_alu instid0(VALU_DEP_2) | instskip(NEXT) | instid1(VALU_DEP_2)
	v_add_co_u32 v2, vcc_lo, v2, v5
	v_add_co_ci_u32_e32 v12, vcc_lo, v4, v8, vcc_lo
	s_delay_alu instid0(VALU_DEP_2) | instskip(SKIP_1) | instid1(VALU_DEP_3)
	v_mul_hi_u32 v13, v7, v2
	v_mad_u64_u32 v[8:9], null, v3, v2, 0
	v_mad_u64_u32 v[4:5], null, v7, v12, 0
	;; [unrolled: 1-line block ×3, first 2 shown]
	s_delay_alu instid0(VALU_DEP_2) | instskip(NEXT) | instid1(VALU_DEP_3)
	v_add_co_u32 v2, vcc_lo, v13, v4
	v_add_co_ci_u32_e32 v4, vcc_lo, 0, v5, vcc_lo
	s_delay_alu instid0(VALU_DEP_2) | instskip(NEXT) | instid1(VALU_DEP_2)
	v_add_co_u32 v2, vcc_lo, v2, v8
	v_add_co_ci_u32_e32 v2, vcc_lo, v4, v9, vcc_lo
	v_add_co_ci_u32_e32 v4, vcc_lo, 0, v11, vcc_lo
	s_delay_alu instid0(VALU_DEP_2) | instskip(NEXT) | instid1(VALU_DEP_2)
	v_add_co_u32 v10, vcc_lo, v2, v10
	v_add_co_ci_u32_e32 v11, vcc_lo, 0, v4, vcc_lo
	s_delay_alu instid0(VALU_DEP_2) | instskip(NEXT) | instid1(VALU_DEP_1)
	v_mad_u64_u32 v[4:5], null, s16, v10, 0
	v_mov_b32_e32 v2, v5
	s_delay_alu instid0(VALU_DEP_1) | instskip(NEXT) | instid1(VALU_DEP_3)
	v_mad_u64_u32 v[8:9], null, s16, v11, v[2:3]
	v_sub_co_u32 v2, vcc_lo, v7, v4
	s_delay_alu instid0(VALU_DEP_2) | instskip(NEXT) | instid1(VALU_DEP_2)
	v_sub_co_ci_u32_e32 v3, vcc_lo, v3, v8, vcc_lo
	v_sub_co_u32 v4, vcc_lo, v2, s16
	s_delay_alu instid0(VALU_DEP_2) | instskip(NEXT) | instid1(VALU_DEP_2)
	v_subrev_co_ci_u32_e32 v5, vcc_lo, 0, v3, vcc_lo
	v_cmp_le_u32_e32 vcc_lo, s16, v4
	v_cmp_eq_u32_e64 s2, 0, v3
	v_cndmask_b32_e64 v4, 0, -1, vcc_lo
	v_add_co_u32 v7, vcc_lo, v10, 2
	v_add_co_ci_u32_e32 v8, vcc_lo, 0, v11, vcc_lo
	v_cmp_le_u32_e32 vcc_lo, s16, v2
	v_cndmask_b32_e64 v2, 0, -1, vcc_lo
	v_cmp_eq_u32_e32 vcc_lo, 0, v5
	s_delay_alu instid0(VALU_DEP_2) | instskip(SKIP_3) | instid1(VALU_DEP_3)
	v_cndmask_b32_e64 v2, -1, v2, s2
	v_cndmask_b32_e32 v4, -1, v4, vcc_lo
	v_add_co_u32 v5, vcc_lo, v10, 1
	v_add_co_ci_u32_e32 v9, vcc_lo, 0, v11, vcc_lo
	v_cmp_ne_u32_e32 vcc_lo, 0, v4
	s_delay_alu instid0(VALU_DEP_2) | instskip(NEXT) | instid1(VALU_DEP_4)
	v_cndmask_b32_e32 v3, v9, v8, vcc_lo
	v_cndmask_b32_e32 v4, v5, v7, vcc_lo
	v_cmp_ne_u32_e32 vcc_lo, 0, v2
                                        ; implicit-def: $vgpr7
	s_delay_alu instid0(VALU_DEP_2)
	v_dual_cndmask_b32 v5, v11, v3 :: v_dual_cndmask_b32 v4, v10, v4
.LBB19_3:
	s_or_saveexec_b32 s2, s3
	s_load_b128 s[4:7], s[0:1], 0x0
	s_xor_b32 exec_lo, exec_lo, s2
	s_cbranch_execz .LBB19_5
; %bb.4:
	v_cvt_f32_u32_e32 v2, s16
	s_sub_i32 s0, 0, s16
	s_delay_alu instid0(VALU_DEP_1) | instskip(SKIP_2) | instid1(VALU_DEP_1)
	v_rcp_iflag_f32_e32 v2, v2
	s_waitcnt_depctr 0xfff
	v_mul_f32_e32 v2, 0x4f7ffffe, v2
	v_cvt_u32_f32_e32 v2, v2
	s_delay_alu instid0(VALU_DEP_1) | instskip(NEXT) | instid1(VALU_DEP_1)
	v_mul_lo_u32 v3, s0, v2
	v_mul_hi_u32 v3, v2, v3
	s_delay_alu instid0(VALU_DEP_1) | instskip(NEXT) | instid1(VALU_DEP_1)
	v_add_nc_u32_e32 v2, v2, v3
	v_mul_hi_u32 v2, v7, v2
	s_delay_alu instid0(VALU_DEP_1) | instskip(SKIP_1) | instid1(VALU_DEP_2)
	v_mul_lo_u32 v3, v2, s16
	v_add_nc_u32_e32 v4, 1, v2
	v_sub_nc_u32_e32 v3, v7, v3
	s_delay_alu instid0(VALU_DEP_1) | instskip(SKIP_1) | instid1(VALU_DEP_2)
	v_subrev_nc_u32_e32 v5, s16, v3
	v_cmp_le_u32_e32 vcc_lo, s16, v3
	v_cndmask_b32_e32 v3, v3, v5, vcc_lo
	v_dual_mov_b32 v5, 0 :: v_dual_cndmask_b32 v2, v2, v4
	s_delay_alu instid0(VALU_DEP_2) | instskip(NEXT) | instid1(VALU_DEP_2)
	v_cmp_le_u32_e32 vcc_lo, s16, v3
	v_add_nc_u32_e32 v4, 1, v2
	s_delay_alu instid0(VALU_DEP_1)
	v_cndmask_b32_e32 v4, v2, v4, vcc_lo
.LBB19_5:
	s_or_b32 exec_lo, exec_lo, s2
	s_delay_alu instid0(VALU_DEP_1) | instskip(SKIP_2) | instid1(VALU_DEP_3)
	v_add_co_u32 v2, vcc_lo, v4, v6
	v_add_co_ci_u32_e32 v3, vcc_lo, 0, v5, vcc_lo
	v_cmp_eq_u16_e64 s0, s16, 1
	v_add_co_u32 v2, vcc_lo, v2, 1
	s_delay_alu instid0(VALU_DEP_3) | instskip(SKIP_3) | instid1(VALU_DEP_1)
	v_add_co_ci_u32_e32 v3, vcc_lo, 0, v3, vcc_lo
	s_mul_i32 s2, s15, s10
	s_mov_b32 s13, 0
	s_lshl_b32 s12, s2, 1
	v_cmp_lt_u64_e32 vcc_lo, 1, v[2:3]
	s_mov_b32 s3, s13
	s_and_b32 s10, vcc_lo, s0
	s_mov_b32 s0, -1
	s_and_saveexec_b32 s1, s10
	s_cbranch_execz .LBB19_9
; %bb.6:
	v_lshlrev_b32_e32 v6, 1, v0
	s_lshl_b64 s[14:15], s[12:13], 1
	s_xor_b32 s17, s11, 0x80000000
	s_waitcnt lgkmcnt(0)
	s_add_u32 s10, s6, s14
	s_addc_u32 s14, s7, s15
	v_add_co_u32 v8, s10, s10, v6
	s_delay_alu instid0(VALU_DEP_1)
	v_add_co_ci_u32_e64 v9, null, s14, 0, s10
	s_lshl_b64 s[14:15], s[8:9], 1
	s_lshl_b64 s[18:19], s[2:3], 1
	v_dual_mov_b32 v5, v3 :: v_dual_and_b32 v4, -2, v2
	s_lshl_b32 s10, s16, 2
	v_add_co_u32 v10, vcc_lo, v8, s14
	s_add_u32 s14, s4, s18
	s_mov_b32 s0, s11
	s_mov_b32 s20, s17
	v_add_co_ci_u32_e32 v11, vcc_lo, s15, v9, vcc_lo
	s_addc_u32 s15, s5, s19
	v_add_co_u32 v12, s14, s14, v6
	s_delay_alu instid0(VALU_DEP_1)
	v_add_co_ci_u32_e64 v13, null, s15, 0, s14
	v_max_f32_e64 v14, s11, s11
	v_max_f32_e64 v15, s0, s0
	;; [unrolled: 1-line block ×4, first 2 shown]
	v_dual_mov_b32 v7, v5 :: v_dual_mov_b32 v6, v4
	s_mov_b64 s[14:15], 0
	s_mov_b32 s17, s13
.LBB19_7:                               ; =>This Inner Loop Header: Depth=1
	v_add_co_u32 v18, vcc_lo, v8, s14
	v_add_co_ci_u32_e32 v19, vcc_lo, s15, v9, vcc_lo
	v_add_co_u32 v20, vcc_lo, v10, s14
	v_add_co_ci_u32_e32 v21, vcc_lo, s15, v11, vcc_lo
	s_clause 0x1
	global_load_b32 v18, v[18:19], off
	global_load_b32 v19, v[20:21], off
	s_waitcnt vmcnt(0)
	v_and_b32_e32 v21, 0xffff0000, v19
	v_and_b32_e32 v20, 0xffff0000, v18
	v_lshlrev_b32_e32 v19, 16, v19
	s_delay_alu instid0(VALU_DEP_3) | instskip(NEXT) | instid1(VALU_DEP_2)
	v_dual_max_f32 v21, v21, v21 :: v_dual_lshlrev_b32 v18, 16, v18
	v_dual_max_f32 v20, v20, v20 :: v_dual_max_f32 v19, v19, v19
	s_delay_alu instid0(VALU_DEP_2) | instskip(NEXT) | instid1(VALU_DEP_3)
	v_max_f32_e32 v18, v18, v18
	v_minmax_f32 v21, v21, v14, v16
	s_delay_alu instid0(VALU_DEP_3) | instskip(NEXT) | instid1(VALU_DEP_3)
	v_minmax_f32 v19, v19, v15, v17
	v_min_f32_e32 v18, v18, v15
	s_delay_alu instid0(VALU_DEP_2) | instskip(NEXT) | instid1(VALU_DEP_2)
	v_bfe_u32 v24, v19, 16, 1
	v_bfe_u32 v23, v18, 16, 1
	v_cmp_o_f32_e32 vcc_lo, v18, v18
	s_delay_alu instid0(VALU_DEP_3) | instskip(NEXT) | instid1(VALU_DEP_3)
	v_add3_u32 v24, v19, v24, 0x7fff
	v_add3_u32 v23, v18, v23, 0x7fff
	s_delay_alu instid0(VALU_DEP_1) | instskip(NEXT) | instid1(VALU_DEP_1)
	v_dual_min_f32 v20, v20, v14 :: v_dual_and_b32 v23, 0xffff0000, v23
	v_bfe_u32 v22, v20, 16, 1
	v_cmp_o_f32_e64 s0, v20, v20
	s_delay_alu instid0(VALU_DEP_2) | instskip(NEXT) | instid1(VALU_DEP_4)
	v_add3_u32 v22, v20, v22, 0x7fff
	v_cndmask_b32_e32 v20, 0x7fc00000, v23, vcc_lo
	s_delay_alu instid0(VALU_DEP_2) | instskip(NEXT) | instid1(VALU_DEP_2)
	v_and_b32_e32 v22, 0xffff0000, v22
	v_xor_b32_e32 v23, 0x80000000, v20
	v_cmp_o_f32_e32 vcc_lo, v20, v20
	s_delay_alu instid0(VALU_DEP_3) | instskip(NEXT) | instid1(VALU_DEP_3)
	v_cndmask_b32_e64 v18, 0x7fc00000, v22, s0
	v_bfe_u32 v26, v23, 16, 1
	s_delay_alu instid0(VALU_DEP_2) | instskip(SKIP_1) | instid1(VALU_DEP_3)
	v_xor_b32_e32 v22, 0x80000000, v18
	v_cmp_o_f32_e64 s0, v18, v18
	v_add3_u32 v23, v23, v26, 0x7fff
	s_delay_alu instid0(VALU_DEP_3) | instskip(NEXT) | instid1(VALU_DEP_2)
	v_bfe_u32 v25, v22, 16, 1
	v_and_b32_e32 v23, 0xffff0000, v23
	s_delay_alu instid0(VALU_DEP_2) | instskip(NEXT) | instid1(VALU_DEP_2)
	v_add3_u32 v22, v22, v25, 0x7fff
	v_cndmask_b32_e32 v23, 0x7fc00000, v23, vcc_lo
	s_delay_alu instid0(VALU_DEP_2) | instskip(NEXT) | instid1(VALU_DEP_2)
	v_and_b32_e32 v22, 0xffff0000, v22
	v_mul_f32_e32 v26, 0x3fb8aa3b, v23
	s_delay_alu instid0(VALU_DEP_2) | instskip(NEXT) | instid1(VALU_DEP_2)
	v_cndmask_b32_e64 v22, 0x7fc00000, v22, s0
	v_fma_f32 v29, 0x3fb8aa3b, v23, -v26
	v_rndne_f32_e32 v30, v26
	s_delay_alu instid0(VALU_DEP_3) | instskip(SKIP_1) | instid1(VALU_DEP_3)
	v_mul_f32_e32 v25, 0x3fb8aa3b, v22
	v_cmp_ngt_f32_e64 s0, 0xc2ce8ed0, v22
	v_dual_fmac_f32 v29, 0x32a5705f, v23 :: v_dual_sub_f32 v26, v26, v30
	s_delay_alu instid0(VALU_DEP_3) | instskip(SKIP_1) | instid1(VALU_DEP_3)
	v_fma_f32 v27, 0x3fb8aa3b, v22, -v25
	v_rndne_f32_e32 v28, v25
	v_add_f32_e32 v26, v26, v29
	v_cmp_ngt_f32_e32 vcc_lo, 0xc2ce8ed0, v23
	s_delay_alu instid0(VALU_DEP_4) | instskip(NEXT) | instid1(VALU_DEP_4)
	v_fmac_f32_e32 v27, 0x32a5705f, v22
	v_sub_f32_e32 v25, v25, v28
	v_bfe_u32 v29, v21, 16, 1
	v_exp_f32_e32 v26, v26
	s_delay_alu instid0(VALU_DEP_2) | instskip(SKIP_2) | instid1(VALU_DEP_3)
	v_add_f32_e32 v25, v25, v27
	v_cvt_i32_f32_e32 v27, v28
	v_cvt_i32_f32_e32 v28, v30
	v_exp_f32_e32 v25, v25
	s_waitcnt_depctr 0xfff
	v_ldexp_f32 v26, v26, v28
	s_delay_alu instid0(VALU_DEP_1) | instskip(SKIP_2) | instid1(VALU_DEP_1)
	v_cndmask_b32_e32 v26, 0, v26, vcc_lo
	v_cmp_nlt_f32_e32 vcc_lo, 0x42b17218, v23
	v_ldexp_f32 v25, v25, v27
	v_cndmask_b32_e64 v25, 0, v25, s0
	v_cmp_nlt_f32_e64 s0, 0x42b17218, v22
	s_delay_alu instid0(VALU_DEP_1) | instskip(NEXT) | instid1(VALU_DEP_1)
	v_cndmask_b32_e64 v22, 0x7f800000, v25, s0
	v_add_f32_e32 v22, 1.0, v22
	s_delay_alu instid0(VALU_DEP_1) | instskip(NEXT) | instid1(VALU_DEP_1)
	v_div_scale_f32 v25, null, v22, v22, v18
	v_rcp_f32_e32 v27, v25
	s_waitcnt_depctr 0xfff
	v_fma_f32 v32, -v25, v27, 1.0
	s_delay_alu instid0(VALU_DEP_1) | instskip(SKIP_2) | instid1(VALU_DEP_1)
	v_fmac_f32_e32 v27, v32, v27
	v_cndmask_b32_e32 v23, 0x7f800000, v26, vcc_lo
	v_div_scale_f32 v30, vcc_lo, v18, v22, v18
	v_mul_f32_e32 v32, v30, v27
	s_delay_alu instid0(VALU_DEP_3) | instskip(NEXT) | instid1(VALU_DEP_2)
	v_add_f32_e32 v23, 1.0, v23
	v_fma_f32 v34, -v25, v32, v30
	s_delay_alu instid0(VALU_DEP_2) | instskip(SKIP_1) | instid1(VALU_DEP_3)
	v_div_scale_f32 v26, null, v23, v23, v20
	v_div_scale_f32 v31, s0, v20, v23, v20
	v_fmac_f32_e32 v32, v34, v27
	s_delay_alu instid0(VALU_DEP_3) | instskip(NEXT) | instid1(VALU_DEP_1)
	v_rcp_f32_e32 v28, v26
	v_fma_f32 v25, -v25, v32, v30
	s_delay_alu instid0(VALU_DEP_1)
	v_div_fmas_f32 v25, v25, v27, v32
	s_waitcnt_depctr 0xfff
	v_fma_f32 v33, -v26, v28, 1.0
	s_mov_b32 vcc_lo, s0
	v_add3_u32 v27, v21, v29, 0x7fff
	v_cmp_o_f32_e64 s0, v21, v21
	v_div_fixup_f32 v18, v25, v22, v18
	v_fmac_f32_e32 v28, v33, v28
	v_and_b32_e32 v22, 0xffff0000, v24
	s_delay_alu instid0(VALU_DEP_3) | instskip(NEXT) | instid1(VALU_DEP_3)
	v_bfe_u32 v24, v18, 16, 1
	v_mul_f32_e32 v33, v31, v28
	s_delay_alu instid0(VALU_DEP_1) | instskip(NEXT) | instid1(VALU_DEP_1)
	v_fma_f32 v35, -v26, v33, v31
	v_fmac_f32_e32 v33, v35, v28
	s_delay_alu instid0(VALU_DEP_1) | instskip(NEXT) | instid1(VALU_DEP_1)
	v_fma_f32 v26, -v26, v33, v31
	v_div_fmas_f32 v26, v26, v28, v33
	v_cmp_o_f32_e32 vcc_lo, v19, v19
	v_add3_u32 v19, v18, v24, 0x7fff
	s_delay_alu instid0(VALU_DEP_3) | instskip(SKIP_3) | instid1(VALU_DEP_4)
	v_div_fixup_f32 v20, v26, v23, v20
	v_and_b32_e32 v23, 0xffff0000, v27
	v_cndmask_b32_e32 v22, 0x7fc00000, v22, vcc_lo
	v_cmp_o_f32_e32 vcc_lo, v18, v18
	v_bfe_u32 v25, v20, 16, 1
	s_delay_alu instid0(VALU_DEP_4) | instskip(SKIP_2) | instid1(VALU_DEP_4)
	v_cndmask_b32_e64 v23, 0x7fc00000, v23, s0
	v_and_b32_e32 v19, 0xffff0000, v19
	v_cmp_o_f32_e64 s0, v20, v20
	v_add3_u32 v21, v20, v25, 0x7fff
	s_delay_alu instid0(VALU_DEP_3) | instskip(SKIP_1) | instid1(VALU_DEP_3)
	v_cndmask_b32_e32 v18, 0x7fc00000, v19, vcc_lo
	v_add_co_u32 v6, vcc_lo, v6, -2
	v_and_b32_e32 v21, 0xffff0000, v21
	v_add_co_ci_u32_e32 v7, vcc_lo, -1, v7, vcc_lo
	s_delay_alu instid0(VALU_DEP_4) | instskip(NEXT) | instid1(VALU_DEP_3)
	v_mul_f32_e32 v18, v23, v18
	v_cndmask_b32_e64 v19, 0x7fc00000, v21, s0
	s_delay_alu instid0(VALU_DEP_2) | instskip(SKIP_1) | instid1(VALU_DEP_2)
	v_bfe_u32 v20, v18, 16, 1
	v_cmp_o_f32_e32 vcc_lo, v18, v18
	v_add3_u32 v20, v18, v20, 0x7fff
	s_delay_alu instid0(VALU_DEP_1) | instskip(NEXT) | instid1(VALU_DEP_1)
	v_lshrrev_b32_e32 v20, 16, v20
	v_dual_mul_f32 v19, v22, v19 :: v_dual_cndmask_b32 v20, 0x7fc0, v20
	s_delay_alu instid0(VALU_DEP_1) | instskip(SKIP_3) | instid1(VALU_DEP_3)
	v_bfe_u32 v21, v19, 16, 1
	v_cmp_o_f32_e64 s0, v19, v19
	v_add_co_u32 v18, vcc_lo, v12, s14
	s_add_u32 s14, s14, s10
	v_add3_u32 v21, v19, v21, 0x7fff
	v_add_co_ci_u32_e32 v19, vcc_lo, s15, v13, vcc_lo
	s_addc_u32 s15, s15, 0
	s_delay_alu instid0(VALU_DEP_2) | instskip(NEXT) | instid1(VALU_DEP_1)
	v_lshrrev_b32_e32 v21, 16, v21
	v_cndmask_b32_e64 v21, 0x7fc0, v21, s0
	v_cmp_eq_u64_e64 s0, 0, v[6:7]
	s_delay_alu instid0(VALU_DEP_2) | instskip(NEXT) | instid1(VALU_DEP_2)
	v_perm_b32 v20, v20, v21, 0x5040100
	s_or_b32 s17, s0, s17
	global_store_b32 v[18:19], v20, off
	s_and_not1_b32 exec_lo, exec_lo, s17
	s_cbranch_execnz .LBB19_7
; %bb.8:
	s_or_b32 exec_lo, exec_lo, s17
	v_mad_u64_u32 v[6:7], null, v4, s16, v[0:1]
	v_cmp_ne_u64_e32 vcc_lo, v[2:3], v[4:5]
	s_or_not1_b32 s0, vcc_lo, exec_lo
	s_delay_alu instid0(VALU_DEP_2) | instskip(NEXT) | instid1(VALU_DEP_1)
	v_mov_b32_e32 v0, v7
	v_mad_u64_u32 v[7:8], null, v5, s16, v[0:1]
	s_delay_alu instid0(VALU_DEP_1)
	v_dual_mov_b32 v0, v6 :: v_dual_mov_b32 v1, v7
.LBB19_9:
	s_or_b32 exec_lo, exec_lo, s1
	s_delay_alu instid0(SALU_CYCLE_1)
	s_and_b32 exec_lo, exec_lo, s0
	s_cbranch_execz .LBB19_12
; %bb.10:
	s_lshl_b64 s[0:1], s[12:13], 1
	v_lshlrev_b64 v[2:3], 1, v[0:1]
	s_waitcnt lgkmcnt(0)
	s_add_u32 s6, s6, s0
	s_addc_u32 s7, s7, s1
	s_lshl_b64 s[0:1], s[8:9], 1
	v_max_f32_e64 v4, s11, s11
	s_add_u32 s10, s6, s0
	s_addc_u32 s12, s7, s1
	s_lshl_b64 s[0:1], s[2:3], 1
	v_max_f32_e64 v5, -s11, -s11
	s_add_u32 s2, s4, s0
	s_addc_u32 s3, s5, s1
	s_lshl_b32 s4, s16, 1
	s_mov_b32 s5, 0
.LBB19_11:                              ; =>This Inner Loop Header: Depth=1
	v_add_co_u32 v6, vcc_lo, s6, v2
	v_add_co_ci_u32_e32 v7, vcc_lo, s7, v3, vcc_lo
	global_load_u16 v8, v[6:7], off
	v_add_co_u32 v6, vcc_lo, s10, v2
	v_add_co_ci_u32_e32 v7, vcc_lo, s12, v3, vcc_lo
	global_load_u16 v6, v[6:7], off
	s_waitcnt vmcnt(1)
	v_lshlrev_b32_e32 v7, 16, v8
	s_waitcnt vmcnt(0)
	s_delay_alu instid0(VALU_DEP_1) | instskip(NEXT) | instid1(VALU_DEP_1)
	v_dual_max_f32 v7, v7, v7 :: v_dual_lshlrev_b32 v6, 16, v6
	v_dual_min_f32 v7, v7, v4 :: v_dual_max_f32 v6, v6, v6
	s_delay_alu instid0(VALU_DEP_1) | instskip(SKIP_1) | instid1(VALU_DEP_3)
	v_bfe_u32 v8, v7, 16, 1
	v_cmp_o_f32_e32 vcc_lo, v7, v7
	v_minmax_f32 v6, v6, v4, v5
	s_delay_alu instid0(VALU_DEP_3) | instskip(NEXT) | instid1(VALU_DEP_1)
	v_add3_u32 v8, v7, v8, 0x7fff
	v_and_b32_e32 v8, 0xffff0000, v8
	s_delay_alu instid0(VALU_DEP_1) | instskip(NEXT) | instid1(VALU_DEP_1)
	v_cndmask_b32_e32 v7, 0x7fc00000, v8, vcc_lo
	v_xor_b32_e32 v8, 0x80000000, v7
	v_cmp_o_f32_e32 vcc_lo, v7, v7
	s_delay_alu instid0(VALU_DEP_2) | instskip(NEXT) | instid1(VALU_DEP_1)
	v_bfe_u32 v9, v8, 16, 1
	v_add3_u32 v8, v8, v9, 0x7fff
	s_delay_alu instid0(VALU_DEP_1) | instskip(NEXT) | instid1(VALU_DEP_1)
	v_and_b32_e32 v8, 0xffff0000, v8
	v_cndmask_b32_e32 v8, 0x7fc00000, v8, vcc_lo
	s_delay_alu instid0(VALU_DEP_1) | instskip(NEXT) | instid1(VALU_DEP_1)
	v_mul_f32_e32 v9, 0x3fb8aa3b, v8
	v_fma_f32 v10, 0x3fb8aa3b, v8, -v9
	v_rndne_f32_e32 v11, v9
	s_delay_alu instid0(VALU_DEP_1) | instskip(NEXT) | instid1(VALU_DEP_1)
	v_dual_fmac_f32 v10, 0x32a5705f, v8 :: v_dual_sub_f32 v9, v9, v11
	v_add_f32_e32 v9, v9, v10
	v_cvt_i32_f32_e32 v10, v11
	v_cmp_ngt_f32_e32 vcc_lo, 0xc2ce8ed0, v8
	s_delay_alu instid0(VALU_DEP_3) | instskip(SKIP_2) | instid1(VALU_DEP_1)
	v_exp_f32_e32 v9, v9
	s_waitcnt_depctr 0xfff
	v_ldexp_f32 v9, v9, v10
	v_cndmask_b32_e32 v9, 0, v9, vcc_lo
	v_cmp_nlt_f32_e32 vcc_lo, 0x42b17218, v8
	s_delay_alu instid0(VALU_DEP_2) | instskip(NEXT) | instid1(VALU_DEP_1)
	v_cndmask_b32_e32 v8, 0x7f800000, v9, vcc_lo
	v_add_f32_e32 v8, 1.0, v8
	s_delay_alu instid0(VALU_DEP_1) | instskip(NEXT) | instid1(VALU_DEP_1)
	v_div_scale_f32 v9, null, v8, v8, v7
	v_rcp_f32_e32 v10, v9
	s_waitcnt_depctr 0xfff
	v_fma_f32 v11, -v9, v10, 1.0
	s_delay_alu instid0(VALU_DEP_1) | instskip(SKIP_1) | instid1(VALU_DEP_1)
	v_fmac_f32_e32 v10, v11, v10
	v_div_scale_f32 v12, vcc_lo, v7, v8, v7
	v_mul_f32_e32 v11, v12, v10
	s_delay_alu instid0(VALU_DEP_1) | instskip(NEXT) | instid1(VALU_DEP_1)
	v_fma_f32 v13, -v9, v11, v12
	v_fmac_f32_e32 v11, v13, v10
	s_delay_alu instid0(VALU_DEP_1) | instskip(NEXT) | instid1(VALU_DEP_1)
	v_fma_f32 v9, -v9, v11, v12
	v_div_fmas_f32 v9, v9, v10, v11
	v_cmp_o_f32_e32 vcc_lo, v6, v6
	s_delay_alu instid0(VALU_DEP_2) | instskip(SKIP_1) | instid1(VALU_DEP_2)
	v_div_fixup_f32 v7, v9, v8, v7
	v_bfe_u32 v8, v6, 16, 1
	v_bfe_u32 v9, v7, 16, 1
	s_delay_alu instid0(VALU_DEP_2) | instskip(NEXT) | instid1(VALU_DEP_2)
	v_add3_u32 v8, v6, v8, 0x7fff
	v_add3_u32 v9, v7, v9, 0x7fff
	s_delay_alu instid0(VALU_DEP_2) | instskip(NEXT) | instid1(VALU_DEP_1)
	v_and_b32_e32 v8, 0xffff0000, v8
	v_cndmask_b32_e32 v6, 0x7fc00000, v8, vcc_lo
	s_delay_alu instid0(VALU_DEP_3) | instskip(SKIP_1) | instid1(VALU_DEP_2)
	v_and_b32_e32 v9, 0xffff0000, v9
	v_cmp_o_f32_e32 vcc_lo, v7, v7
	v_cndmask_b32_e32 v7, 0x7fc00000, v9, vcc_lo
	v_add_co_u32 v0, vcc_lo, v0, s16
	v_add_co_ci_u32_e32 v1, vcc_lo, 0, v1, vcc_lo
	s_delay_alu instid0(VALU_DEP_3) | instskip(NEXT) | instid1(VALU_DEP_2)
	v_mul_f32_e32 v8, v6, v7
	v_cmp_le_i64_e64 s0, s[8:9], v[0:1]
	s_delay_alu instid0(VALU_DEP_2) | instskip(SKIP_1) | instid1(VALU_DEP_3)
	v_bfe_u32 v6, v8, 16, 1
	v_cmp_o_f32_e64 s1, v8, v8
	s_or_b32 s5, s0, s5
	s_delay_alu instid0(VALU_DEP_2) | instskip(SKIP_2) | instid1(VALU_DEP_3)
	v_add3_u32 v9, v8, v6, 0x7fff
	v_add_co_u32 v6, vcc_lo, s2, v2
	v_add_co_ci_u32_e32 v7, vcc_lo, s3, v3, vcc_lo
	v_lshrrev_b32_e32 v9, 16, v9
	v_add_co_u32 v2, vcc_lo, v2, s4
	v_add_co_ci_u32_e32 v3, vcc_lo, 0, v3, vcc_lo
	s_delay_alu instid0(VALU_DEP_3)
	v_cndmask_b32_e64 v8, 0x7fc0, v9, s1
	global_store_b16 v[6:7], v8, off
	s_and_not1_b32 exec_lo, exec_lo, s5
	s_cbranch_execnz .LBB19_11
.LBB19_12:
	s_nop 0
	s_sendmsg sendmsg(MSG_DEALLOC_VGPRS)
	s_endpgm
	.section	.rodata,"a",@progbits
	.p2align	6, 0x0
	.amdhsa_kernel _ZN4vllm18act_and_mul_kernelIN3c108BFloat16E15__hip_bfloat162TnPFT_RKS4_EXadL_ZNS_11silu_kernelIS2_EES4_S6_EETnPFT0_RKSA_EXadL_ZNS_18packed_silu_kernelIS3_EES4_S6_EELb1ELb0ELb1ELb0EEEvPS4_PS5_if
		.amdhsa_group_segment_fixed_size 0
		.amdhsa_private_segment_fixed_size 0
		.amdhsa_kernarg_size 280
		.amdhsa_user_sgpr_count 15
		.amdhsa_user_sgpr_dispatch_ptr 0
		.amdhsa_user_sgpr_queue_ptr 0
		.amdhsa_user_sgpr_kernarg_segment_ptr 1
		.amdhsa_user_sgpr_dispatch_id 0
		.amdhsa_user_sgpr_private_segment_size 0
		.amdhsa_wavefront_size32 1
		.amdhsa_uses_dynamic_stack 0
		.amdhsa_enable_private_segment 0
		.amdhsa_system_sgpr_workgroup_id_x 1
		.amdhsa_system_sgpr_workgroup_id_y 0
		.amdhsa_system_sgpr_workgroup_id_z 0
		.amdhsa_system_sgpr_workgroup_info 0
		.amdhsa_system_vgpr_workitem_id 0
		.amdhsa_next_free_vgpr 36
		.amdhsa_next_free_sgpr 21
		.amdhsa_reserve_vcc 1
		.amdhsa_float_round_mode_32 0
		.amdhsa_float_round_mode_16_64 0
		.amdhsa_float_denorm_mode_32 3
		.amdhsa_float_denorm_mode_16_64 3
		.amdhsa_dx10_clamp 1
		.amdhsa_ieee_mode 1
		.amdhsa_fp16_overflow 0
		.amdhsa_workgroup_processor_mode 1
		.amdhsa_memory_ordered 1
		.amdhsa_forward_progress 0
		.amdhsa_shared_vgpr_count 0
		.amdhsa_exception_fp_ieee_invalid_op 0
		.amdhsa_exception_fp_denorm_src 0
		.amdhsa_exception_fp_ieee_div_zero 0
		.amdhsa_exception_fp_ieee_overflow 0
		.amdhsa_exception_fp_ieee_underflow 0
		.amdhsa_exception_fp_ieee_inexact 0
		.amdhsa_exception_int_div_zero 0
	.end_amdhsa_kernel
	.section	.text._ZN4vllm18act_and_mul_kernelIN3c108BFloat16E15__hip_bfloat162TnPFT_RKS4_EXadL_ZNS_11silu_kernelIS2_EES4_S6_EETnPFT0_RKSA_EXadL_ZNS_18packed_silu_kernelIS3_EES4_S6_EELb1ELb0ELb1ELb0EEEvPS4_PS5_if,"axG",@progbits,_ZN4vllm18act_and_mul_kernelIN3c108BFloat16E15__hip_bfloat162TnPFT_RKS4_EXadL_ZNS_11silu_kernelIS2_EES4_S6_EETnPFT0_RKSA_EXadL_ZNS_18packed_silu_kernelIS3_EES4_S6_EELb1ELb0ELb1ELb0EEEvPS4_PS5_if,comdat
.Lfunc_end19:
	.size	_ZN4vllm18act_and_mul_kernelIN3c108BFloat16E15__hip_bfloat162TnPFT_RKS4_EXadL_ZNS_11silu_kernelIS2_EES4_S6_EETnPFT0_RKSA_EXadL_ZNS_18packed_silu_kernelIS3_EES4_S6_EELb1ELb0ELb1ELb0EEEvPS4_PS5_if, .Lfunc_end19-_ZN4vllm18act_and_mul_kernelIN3c108BFloat16E15__hip_bfloat162TnPFT_RKS4_EXadL_ZNS_11silu_kernelIS2_EES4_S6_EETnPFT0_RKSA_EXadL_ZNS_18packed_silu_kernelIS3_EES4_S6_EELb1ELb0ELb1ELb0EEEvPS4_PS5_if
                                        ; -- End function
	.section	.AMDGPU.csdata,"",@progbits
; Kernel info:
; codeLenInByte = 3144
; NumSgprs: 23
; NumVgprs: 36
; ScratchSize: 0
; MemoryBound: 0
; FloatMode: 240
; IeeeMode: 1
; LDSByteSize: 0 bytes/workgroup (compile time only)
; SGPRBlocks: 2
; VGPRBlocks: 4
; NumSGPRsForWavesPerEU: 23
; NumVGPRsForWavesPerEU: 36
; Occupancy: 16
; WaveLimiterHint : 0
; COMPUTE_PGM_RSRC2:SCRATCH_EN: 0
; COMPUTE_PGM_RSRC2:USER_SGPR: 15
; COMPUTE_PGM_RSRC2:TRAP_HANDLER: 0
; COMPUTE_PGM_RSRC2:TGID_X_EN: 1
; COMPUTE_PGM_RSRC2:TGID_Y_EN: 0
; COMPUTE_PGM_RSRC2:TGID_Z_EN: 0
; COMPUTE_PGM_RSRC2:TIDIG_COMP_CNT: 0
	.section	.text._ZN4vllm18act_and_mul_kernelIf15HIP_vector_typeIfLj2EETnPFT_RKS3_EXadL_ZNS_11silu_kernelIfEES3_S5_EETnPFT0_RKS9_EXadL_ZNS_18packed_silu_kernelIS2_EES3_S5_EELb0ELb1ELb0ELb1EEEvPS3_PS4_if,"axG",@progbits,_ZN4vllm18act_and_mul_kernelIf15HIP_vector_typeIfLj2EETnPFT_RKS3_EXadL_ZNS_11silu_kernelIfEES3_S5_EETnPFT0_RKS9_EXadL_ZNS_18packed_silu_kernelIS2_EES3_S5_EELb0ELb1ELb0ELb1EEEvPS3_PS4_if,comdat
	.protected	_ZN4vllm18act_and_mul_kernelIf15HIP_vector_typeIfLj2EETnPFT_RKS3_EXadL_ZNS_11silu_kernelIfEES3_S5_EETnPFT0_RKS9_EXadL_ZNS_18packed_silu_kernelIS2_EES3_S5_EELb0ELb1ELb0ELb1EEEvPS3_PS4_if ; -- Begin function _ZN4vllm18act_and_mul_kernelIf15HIP_vector_typeIfLj2EETnPFT_RKS3_EXadL_ZNS_11silu_kernelIfEES3_S5_EETnPFT0_RKS9_EXadL_ZNS_18packed_silu_kernelIS2_EES3_S5_EELb0ELb1ELb0ELb1EEEvPS3_PS4_if
	.globl	_ZN4vllm18act_and_mul_kernelIf15HIP_vector_typeIfLj2EETnPFT_RKS3_EXadL_ZNS_11silu_kernelIfEES3_S5_EETnPFT0_RKS9_EXadL_ZNS_18packed_silu_kernelIS2_EES3_S5_EELb0ELb1ELb0ELb1EEEvPS3_PS4_if
	.p2align	8
	.type	_ZN4vllm18act_and_mul_kernelIf15HIP_vector_typeIfLj2EETnPFT_RKS3_EXadL_ZNS_11silu_kernelIfEES3_S5_EETnPFT0_RKS9_EXadL_ZNS_18packed_silu_kernelIS2_EES3_S5_EELb0ELb1ELb0ELb1EEEvPS3_PS4_if,@function
_ZN4vllm18act_and_mul_kernelIf15HIP_vector_typeIfLj2EETnPFT_RKS3_EXadL_ZNS_11silu_kernelIfEES3_S5_EETnPFT0_RKS9_EXadL_ZNS_18packed_silu_kernelIS2_EES3_S5_EELb0ELb1ELb0ELb1EEEvPS3_PS4_if: ; @_ZN4vllm18act_and_mul_kernelIf15HIP_vector_typeIfLj2EETnPFT_RKS3_EXadL_ZNS_11silu_kernelIfEES3_S5_EETnPFT0_RKS9_EXadL_ZNS_18packed_silu_kernelIS2_EES3_S5_EELb0ELb1ELb0ELb1EEEvPS3_PS4_if
; %bb.0:
	s_load_b32 s2, s[0:1], 0x10
	s_mov_b32 s32, 0
	s_waitcnt lgkmcnt(0)
	s_ashr_i32 s3, s2, 31
	s_delay_alu instid0(SALU_CYCLE_1) | instskip(NEXT) | instid1(SALU_CYCLE_1)
	s_lshr_b32 s3, s3, 29
	s_add_i32 s2, s2, s3
	s_delay_alu instid0(SALU_CYCLE_1) | instskip(NEXT) | instid1(SALU_CYCLE_1)
	s_ashr_i32 s2, s2, 3
	v_cmp_gt_i32_e32 vcc_lo, s2, v0
	s_and_saveexec_b32 s2, vcc_lo
	s_cbranch_execz .LBB20_2
; %bb.1:
	s_add_u32 s8, s0, 24
	s_addc_u32 s9, s1, 0
	s_getpc_b64 s[0:1]
	s_add_u32 s0, s0, .str@rel32@lo+4
	s_addc_u32 s1, s1, .str@rel32@hi+12
	s_getpc_b64 s[2:3]
	s_add_u32 s2, s2, __PRETTY_FUNCTION__._ZN4vllm5ld256ERNS_7u32x8_tEPKS0_@rel32@lo+4
	s_addc_u32 s3, s3, __PRETTY_FUNCTION__._ZN4vllm5ld256ERNS_7u32x8_tEPKS0_@rel32@hi+12
	v_dual_mov_b32 v0, s0 :: v_dual_mov_b32 v1, s1
	v_dual_mov_b32 v2, 0x93 :: v_dual_mov_b32 v3, s2
	v_mov_b32_e32 v4, s3
	s_getpc_b64 s[4:5]
	s_add_u32 s4, s4, __assert_fail@rel32@lo+4
	s_addc_u32 s5, s5, __assert_fail@rel32@hi+12
	s_delay_alu instid0(SALU_CYCLE_1)
	s_swappc_b64 s[30:31], s[4:5]
	; divergent unreachable
.LBB20_2:
	s_endpgm
	.section	.rodata,"a",@progbits
	.p2align	6, 0x0
	.amdhsa_kernel _ZN4vllm18act_and_mul_kernelIf15HIP_vector_typeIfLj2EETnPFT_RKS3_EXadL_ZNS_11silu_kernelIfEES3_S5_EETnPFT0_RKS9_EXadL_ZNS_18packed_silu_kernelIS2_EES3_S5_EELb0ELb1ELb0ELb1EEEvPS3_PS4_if
		.amdhsa_group_segment_fixed_size 0
		.amdhsa_private_segment_fixed_size 64
		.amdhsa_kernarg_size 280
		.amdhsa_user_sgpr_count 15
		.amdhsa_user_sgpr_dispatch_ptr 0
		.amdhsa_user_sgpr_queue_ptr 0
		.amdhsa_user_sgpr_kernarg_segment_ptr 1
		.amdhsa_user_sgpr_dispatch_id 0
		.amdhsa_user_sgpr_private_segment_size 0
		.amdhsa_wavefront_size32 1
		.amdhsa_uses_dynamic_stack 0
		.amdhsa_enable_private_segment 1
		.amdhsa_system_sgpr_workgroup_id_x 1
		.amdhsa_system_sgpr_workgroup_id_y 0
		.amdhsa_system_sgpr_workgroup_id_z 0
		.amdhsa_system_sgpr_workgroup_info 0
		.amdhsa_system_vgpr_workitem_id 0
		.amdhsa_next_free_vgpr 51
		.amdhsa_next_free_sgpr 34
		.amdhsa_reserve_vcc 1
		.amdhsa_float_round_mode_32 0
		.amdhsa_float_round_mode_16_64 0
		.amdhsa_float_denorm_mode_32 3
		.amdhsa_float_denorm_mode_16_64 3
		.amdhsa_dx10_clamp 1
		.amdhsa_ieee_mode 1
		.amdhsa_fp16_overflow 0
		.amdhsa_workgroup_processor_mode 1
		.amdhsa_memory_ordered 1
		.amdhsa_forward_progress 0
		.amdhsa_shared_vgpr_count 0
		.amdhsa_exception_fp_ieee_invalid_op 0
		.amdhsa_exception_fp_denorm_src 0
		.amdhsa_exception_fp_ieee_div_zero 0
		.amdhsa_exception_fp_ieee_overflow 0
		.amdhsa_exception_fp_ieee_underflow 0
		.amdhsa_exception_fp_ieee_inexact 0
		.amdhsa_exception_int_div_zero 0
	.end_amdhsa_kernel
	.section	.text._ZN4vllm18act_and_mul_kernelIf15HIP_vector_typeIfLj2EETnPFT_RKS3_EXadL_ZNS_11silu_kernelIfEES3_S5_EETnPFT0_RKS9_EXadL_ZNS_18packed_silu_kernelIS2_EES3_S5_EELb0ELb1ELb0ELb1EEEvPS3_PS4_if,"axG",@progbits,_ZN4vllm18act_and_mul_kernelIf15HIP_vector_typeIfLj2EETnPFT_RKS3_EXadL_ZNS_11silu_kernelIfEES3_S5_EETnPFT0_RKS9_EXadL_ZNS_18packed_silu_kernelIS2_EES3_S5_EELb0ELb1ELb0ELb1EEEvPS3_PS4_if,comdat
.Lfunc_end20:
	.size	_ZN4vllm18act_and_mul_kernelIf15HIP_vector_typeIfLj2EETnPFT_RKS3_EXadL_ZNS_11silu_kernelIfEES3_S5_EETnPFT0_RKS9_EXadL_ZNS_18packed_silu_kernelIS2_EES3_S5_EELb0ELb1ELb0ELb1EEEvPS3_PS4_if, .Lfunc_end20-_ZN4vllm18act_and_mul_kernelIf15HIP_vector_typeIfLj2EETnPFT_RKS3_EXadL_ZNS_11silu_kernelIfEES3_S5_EETnPFT0_RKS9_EXadL_ZNS_18packed_silu_kernelIS2_EES3_S5_EELb0ELb1ELb0ELb1EEEvPS3_PS4_if
                                        ; -- End function
	.section	.AMDGPU.csdata,"",@progbits
; Kernel info:
; codeLenInByte = 156
; NumSgprs: 36
; NumVgprs: 51
; ScratchSize: 64
; MemoryBound: 0
; FloatMode: 240
; IeeeMode: 1
; LDSByteSize: 0 bytes/workgroup (compile time only)
; SGPRBlocks: 4
; VGPRBlocks: 6
; NumSGPRsForWavesPerEU: 36
; NumVGPRsForWavesPerEU: 51
; Occupancy: 16
; WaveLimiterHint : 1
; COMPUTE_PGM_RSRC2:SCRATCH_EN: 1
; COMPUTE_PGM_RSRC2:USER_SGPR: 15
; COMPUTE_PGM_RSRC2:TRAP_HANDLER: 0
; COMPUTE_PGM_RSRC2:TGID_X_EN: 1
; COMPUTE_PGM_RSRC2:TGID_Y_EN: 0
; COMPUTE_PGM_RSRC2:TGID_Z_EN: 0
; COMPUTE_PGM_RSRC2:TIDIG_COMP_CNT: 0
	.section	.text._ZN4vllm18act_and_mul_kernelIN3c104HalfE7__half2TnPFT_RKS4_EXadL_ZNS_11silu_kernelIS2_EES4_S6_EETnPFT0_RKSA_EXadL_ZNS_18packed_silu_kernelIS3_EES4_S6_EELb0ELb1ELb0ELb1EEEvPS4_PS5_if,"axG",@progbits,_ZN4vllm18act_and_mul_kernelIN3c104HalfE7__half2TnPFT_RKS4_EXadL_ZNS_11silu_kernelIS2_EES4_S6_EETnPFT0_RKSA_EXadL_ZNS_18packed_silu_kernelIS3_EES4_S6_EELb0ELb1ELb0ELb1EEEvPS4_PS5_if,comdat
	.protected	_ZN4vllm18act_and_mul_kernelIN3c104HalfE7__half2TnPFT_RKS4_EXadL_ZNS_11silu_kernelIS2_EES4_S6_EETnPFT0_RKSA_EXadL_ZNS_18packed_silu_kernelIS3_EES4_S6_EELb0ELb1ELb0ELb1EEEvPS4_PS5_if ; -- Begin function _ZN4vllm18act_and_mul_kernelIN3c104HalfE7__half2TnPFT_RKS4_EXadL_ZNS_11silu_kernelIS2_EES4_S6_EETnPFT0_RKSA_EXadL_ZNS_18packed_silu_kernelIS3_EES4_S6_EELb0ELb1ELb0ELb1EEEvPS4_PS5_if
	.globl	_ZN4vllm18act_and_mul_kernelIN3c104HalfE7__half2TnPFT_RKS4_EXadL_ZNS_11silu_kernelIS2_EES4_S6_EETnPFT0_RKSA_EXadL_ZNS_18packed_silu_kernelIS3_EES4_S6_EELb0ELb1ELb0ELb1EEEvPS4_PS5_if
	.p2align	8
	.type	_ZN4vllm18act_and_mul_kernelIN3c104HalfE7__half2TnPFT_RKS4_EXadL_ZNS_11silu_kernelIS2_EES4_S6_EETnPFT0_RKSA_EXadL_ZNS_18packed_silu_kernelIS3_EES4_S6_EELb0ELb1ELb0ELb1EEEvPS4_PS5_if,@function
_ZN4vllm18act_and_mul_kernelIN3c104HalfE7__half2TnPFT_RKS4_EXadL_ZNS_11silu_kernelIS2_EES4_S6_EETnPFT0_RKSA_EXadL_ZNS_18packed_silu_kernelIS3_EES4_S6_EELb0ELb1ELb0ELb1EEEvPS4_PS5_if: ; @_ZN4vllm18act_and_mul_kernelIN3c104HalfE7__half2TnPFT_RKS4_EXadL_ZNS_11silu_kernelIS2_EES4_S6_EETnPFT0_RKSA_EXadL_ZNS_18packed_silu_kernelIS3_EES4_S6_EELb0ELb1ELb0ELb1EEEvPS4_PS5_if
; %bb.0:
	s_load_b32 s2, s[0:1], 0x10
	s_mov_b32 s32, 0
	s_waitcnt lgkmcnt(0)
	s_ashr_i32 s3, s2, 31
	s_delay_alu instid0(SALU_CYCLE_1) | instskip(NEXT) | instid1(SALU_CYCLE_1)
	s_lshr_b32 s3, s3, 28
	s_add_i32 s2, s2, s3
	s_delay_alu instid0(SALU_CYCLE_1) | instskip(NEXT) | instid1(SALU_CYCLE_1)
	s_ashr_i32 s2, s2, 4
	v_cmp_gt_i32_e32 vcc_lo, s2, v0
	s_and_saveexec_b32 s2, vcc_lo
	s_cbranch_execz .LBB21_2
; %bb.1:
	s_add_u32 s8, s0, 24
	s_addc_u32 s9, s1, 0
	s_getpc_b64 s[0:1]
	s_add_u32 s0, s0, .str@rel32@lo+4
	s_addc_u32 s1, s1, .str@rel32@hi+12
	s_getpc_b64 s[2:3]
	s_add_u32 s2, s2, __PRETTY_FUNCTION__._ZN4vllm5ld256ERNS_7u32x8_tEPKS0_@rel32@lo+4
	s_addc_u32 s3, s3, __PRETTY_FUNCTION__._ZN4vllm5ld256ERNS_7u32x8_tEPKS0_@rel32@hi+12
	v_dual_mov_b32 v0, s0 :: v_dual_mov_b32 v1, s1
	v_dual_mov_b32 v2, 0x93 :: v_dual_mov_b32 v3, s2
	v_mov_b32_e32 v4, s3
	s_getpc_b64 s[4:5]
	s_add_u32 s4, s4, __assert_fail@rel32@lo+4
	s_addc_u32 s5, s5, __assert_fail@rel32@hi+12
	s_delay_alu instid0(SALU_CYCLE_1)
	s_swappc_b64 s[30:31], s[4:5]
	; divergent unreachable
.LBB21_2:
	s_endpgm
	.section	.rodata,"a",@progbits
	.p2align	6, 0x0
	.amdhsa_kernel _ZN4vllm18act_and_mul_kernelIN3c104HalfE7__half2TnPFT_RKS4_EXadL_ZNS_11silu_kernelIS2_EES4_S6_EETnPFT0_RKSA_EXadL_ZNS_18packed_silu_kernelIS3_EES4_S6_EELb0ELb1ELb0ELb1EEEvPS4_PS5_if
		.amdhsa_group_segment_fixed_size 0
		.amdhsa_private_segment_fixed_size 64
		.amdhsa_kernarg_size 280
		.amdhsa_user_sgpr_count 15
		.amdhsa_user_sgpr_dispatch_ptr 0
		.amdhsa_user_sgpr_queue_ptr 0
		.amdhsa_user_sgpr_kernarg_segment_ptr 1
		.amdhsa_user_sgpr_dispatch_id 0
		.amdhsa_user_sgpr_private_segment_size 0
		.amdhsa_wavefront_size32 1
		.amdhsa_uses_dynamic_stack 0
		.amdhsa_enable_private_segment 1
		.amdhsa_system_sgpr_workgroup_id_x 1
		.amdhsa_system_sgpr_workgroup_id_y 0
		.amdhsa_system_sgpr_workgroup_id_z 0
		.amdhsa_system_sgpr_workgroup_info 0
		.amdhsa_system_vgpr_workitem_id 0
		.amdhsa_next_free_vgpr 51
		.amdhsa_next_free_sgpr 34
		.amdhsa_reserve_vcc 1
		.amdhsa_float_round_mode_32 0
		.amdhsa_float_round_mode_16_64 0
		.amdhsa_float_denorm_mode_32 3
		.amdhsa_float_denorm_mode_16_64 3
		.amdhsa_dx10_clamp 1
		.amdhsa_ieee_mode 1
		.amdhsa_fp16_overflow 0
		.amdhsa_workgroup_processor_mode 1
		.amdhsa_memory_ordered 1
		.amdhsa_forward_progress 0
		.amdhsa_shared_vgpr_count 0
		.amdhsa_exception_fp_ieee_invalid_op 0
		.amdhsa_exception_fp_denorm_src 0
		.amdhsa_exception_fp_ieee_div_zero 0
		.amdhsa_exception_fp_ieee_overflow 0
		.amdhsa_exception_fp_ieee_underflow 0
		.amdhsa_exception_fp_ieee_inexact 0
		.amdhsa_exception_int_div_zero 0
	.end_amdhsa_kernel
	.section	.text._ZN4vllm18act_and_mul_kernelIN3c104HalfE7__half2TnPFT_RKS4_EXadL_ZNS_11silu_kernelIS2_EES4_S6_EETnPFT0_RKSA_EXadL_ZNS_18packed_silu_kernelIS3_EES4_S6_EELb0ELb1ELb0ELb1EEEvPS4_PS5_if,"axG",@progbits,_ZN4vllm18act_and_mul_kernelIN3c104HalfE7__half2TnPFT_RKS4_EXadL_ZNS_11silu_kernelIS2_EES4_S6_EETnPFT0_RKSA_EXadL_ZNS_18packed_silu_kernelIS3_EES4_S6_EELb0ELb1ELb0ELb1EEEvPS4_PS5_if,comdat
.Lfunc_end21:
	.size	_ZN4vllm18act_and_mul_kernelIN3c104HalfE7__half2TnPFT_RKS4_EXadL_ZNS_11silu_kernelIS2_EES4_S6_EETnPFT0_RKSA_EXadL_ZNS_18packed_silu_kernelIS3_EES4_S6_EELb0ELb1ELb0ELb1EEEvPS4_PS5_if, .Lfunc_end21-_ZN4vllm18act_and_mul_kernelIN3c104HalfE7__half2TnPFT_RKS4_EXadL_ZNS_11silu_kernelIS2_EES4_S6_EETnPFT0_RKSA_EXadL_ZNS_18packed_silu_kernelIS3_EES4_S6_EELb0ELb1ELb0ELb1EEEvPS4_PS5_if
                                        ; -- End function
	.section	.AMDGPU.csdata,"",@progbits
; Kernel info:
; codeLenInByte = 156
; NumSgprs: 36
; NumVgprs: 51
; ScratchSize: 64
; MemoryBound: 0
; FloatMode: 240
; IeeeMode: 1
; LDSByteSize: 0 bytes/workgroup (compile time only)
; SGPRBlocks: 4
; VGPRBlocks: 6
; NumSGPRsForWavesPerEU: 36
; NumVGPRsForWavesPerEU: 51
; Occupancy: 16
; WaveLimiterHint : 1
; COMPUTE_PGM_RSRC2:SCRATCH_EN: 1
; COMPUTE_PGM_RSRC2:USER_SGPR: 15
; COMPUTE_PGM_RSRC2:TRAP_HANDLER: 0
; COMPUTE_PGM_RSRC2:TGID_X_EN: 1
; COMPUTE_PGM_RSRC2:TGID_Y_EN: 0
; COMPUTE_PGM_RSRC2:TGID_Z_EN: 0
; COMPUTE_PGM_RSRC2:TIDIG_COMP_CNT: 0
	.section	.text._ZN4vllm18act_and_mul_kernelIN3c108BFloat16E15__hip_bfloat162TnPFT_RKS4_EXadL_ZNS_11silu_kernelIS2_EES4_S6_EETnPFT0_RKSA_EXadL_ZNS_18packed_silu_kernelIS3_EES4_S6_EELb0ELb1ELb0ELb1EEEvPS4_PS5_if,"axG",@progbits,_ZN4vllm18act_and_mul_kernelIN3c108BFloat16E15__hip_bfloat162TnPFT_RKS4_EXadL_ZNS_11silu_kernelIS2_EES4_S6_EETnPFT0_RKSA_EXadL_ZNS_18packed_silu_kernelIS3_EES4_S6_EELb0ELb1ELb0ELb1EEEvPS4_PS5_if,comdat
	.protected	_ZN4vllm18act_and_mul_kernelIN3c108BFloat16E15__hip_bfloat162TnPFT_RKS4_EXadL_ZNS_11silu_kernelIS2_EES4_S6_EETnPFT0_RKSA_EXadL_ZNS_18packed_silu_kernelIS3_EES4_S6_EELb0ELb1ELb0ELb1EEEvPS4_PS5_if ; -- Begin function _ZN4vllm18act_and_mul_kernelIN3c108BFloat16E15__hip_bfloat162TnPFT_RKS4_EXadL_ZNS_11silu_kernelIS2_EES4_S6_EETnPFT0_RKSA_EXadL_ZNS_18packed_silu_kernelIS3_EES4_S6_EELb0ELb1ELb0ELb1EEEvPS4_PS5_if
	.globl	_ZN4vllm18act_and_mul_kernelIN3c108BFloat16E15__hip_bfloat162TnPFT_RKS4_EXadL_ZNS_11silu_kernelIS2_EES4_S6_EETnPFT0_RKSA_EXadL_ZNS_18packed_silu_kernelIS3_EES4_S6_EELb0ELb1ELb0ELb1EEEvPS4_PS5_if
	.p2align	8
	.type	_ZN4vllm18act_and_mul_kernelIN3c108BFloat16E15__hip_bfloat162TnPFT_RKS4_EXadL_ZNS_11silu_kernelIS2_EES4_S6_EETnPFT0_RKSA_EXadL_ZNS_18packed_silu_kernelIS3_EES4_S6_EELb0ELb1ELb0ELb1EEEvPS4_PS5_if,@function
_ZN4vllm18act_and_mul_kernelIN3c108BFloat16E15__hip_bfloat162TnPFT_RKS4_EXadL_ZNS_11silu_kernelIS2_EES4_S6_EETnPFT0_RKSA_EXadL_ZNS_18packed_silu_kernelIS3_EES4_S6_EELb0ELb1ELb0ELb1EEEvPS4_PS5_if: ; @_ZN4vllm18act_and_mul_kernelIN3c108BFloat16E15__hip_bfloat162TnPFT_RKS4_EXadL_ZNS_11silu_kernelIS2_EES4_S6_EETnPFT0_RKSA_EXadL_ZNS_18packed_silu_kernelIS3_EES4_S6_EELb0ELb1ELb0ELb1EEEvPS4_PS5_if
; %bb.0:
	s_load_b32 s2, s[0:1], 0x10
	s_mov_b32 s32, 0
	s_waitcnt lgkmcnt(0)
	s_ashr_i32 s3, s2, 31
	s_delay_alu instid0(SALU_CYCLE_1) | instskip(NEXT) | instid1(SALU_CYCLE_1)
	s_lshr_b32 s3, s3, 28
	s_add_i32 s2, s2, s3
	s_delay_alu instid0(SALU_CYCLE_1) | instskip(NEXT) | instid1(SALU_CYCLE_1)
	s_ashr_i32 s2, s2, 4
	v_cmp_gt_i32_e32 vcc_lo, s2, v0
	s_and_saveexec_b32 s2, vcc_lo
	s_cbranch_execz .LBB22_2
; %bb.1:
	s_add_u32 s8, s0, 24
	s_addc_u32 s9, s1, 0
	s_getpc_b64 s[0:1]
	s_add_u32 s0, s0, .str@rel32@lo+4
	s_addc_u32 s1, s1, .str@rel32@hi+12
	s_getpc_b64 s[2:3]
	s_add_u32 s2, s2, __PRETTY_FUNCTION__._ZN4vllm5ld256ERNS_7u32x8_tEPKS0_@rel32@lo+4
	s_addc_u32 s3, s3, __PRETTY_FUNCTION__._ZN4vllm5ld256ERNS_7u32x8_tEPKS0_@rel32@hi+12
	v_dual_mov_b32 v0, s0 :: v_dual_mov_b32 v1, s1
	v_dual_mov_b32 v2, 0x93 :: v_dual_mov_b32 v3, s2
	v_mov_b32_e32 v4, s3
	s_getpc_b64 s[4:5]
	s_add_u32 s4, s4, __assert_fail@rel32@lo+4
	s_addc_u32 s5, s5, __assert_fail@rel32@hi+12
	s_delay_alu instid0(SALU_CYCLE_1)
	s_swappc_b64 s[30:31], s[4:5]
	; divergent unreachable
.LBB22_2:
	s_endpgm
	.section	.rodata,"a",@progbits
	.p2align	6, 0x0
	.amdhsa_kernel _ZN4vllm18act_and_mul_kernelIN3c108BFloat16E15__hip_bfloat162TnPFT_RKS4_EXadL_ZNS_11silu_kernelIS2_EES4_S6_EETnPFT0_RKSA_EXadL_ZNS_18packed_silu_kernelIS3_EES4_S6_EELb0ELb1ELb0ELb1EEEvPS4_PS5_if
		.amdhsa_group_segment_fixed_size 0
		.amdhsa_private_segment_fixed_size 64
		.amdhsa_kernarg_size 280
		.amdhsa_user_sgpr_count 15
		.amdhsa_user_sgpr_dispatch_ptr 0
		.amdhsa_user_sgpr_queue_ptr 0
		.amdhsa_user_sgpr_kernarg_segment_ptr 1
		.amdhsa_user_sgpr_dispatch_id 0
		.amdhsa_user_sgpr_private_segment_size 0
		.amdhsa_wavefront_size32 1
		.amdhsa_uses_dynamic_stack 0
		.amdhsa_enable_private_segment 1
		.amdhsa_system_sgpr_workgroup_id_x 1
		.amdhsa_system_sgpr_workgroup_id_y 0
		.amdhsa_system_sgpr_workgroup_id_z 0
		.amdhsa_system_sgpr_workgroup_info 0
		.amdhsa_system_vgpr_workitem_id 0
		.amdhsa_next_free_vgpr 51
		.amdhsa_next_free_sgpr 34
		.amdhsa_reserve_vcc 1
		.amdhsa_float_round_mode_32 0
		.amdhsa_float_round_mode_16_64 0
		.amdhsa_float_denorm_mode_32 3
		.amdhsa_float_denorm_mode_16_64 3
		.amdhsa_dx10_clamp 1
		.amdhsa_ieee_mode 1
		.amdhsa_fp16_overflow 0
		.amdhsa_workgroup_processor_mode 1
		.amdhsa_memory_ordered 1
		.amdhsa_forward_progress 0
		.amdhsa_shared_vgpr_count 0
		.amdhsa_exception_fp_ieee_invalid_op 0
		.amdhsa_exception_fp_denorm_src 0
		.amdhsa_exception_fp_ieee_div_zero 0
		.amdhsa_exception_fp_ieee_overflow 0
		.amdhsa_exception_fp_ieee_underflow 0
		.amdhsa_exception_fp_ieee_inexact 0
		.amdhsa_exception_int_div_zero 0
	.end_amdhsa_kernel
	.section	.text._ZN4vllm18act_and_mul_kernelIN3c108BFloat16E15__hip_bfloat162TnPFT_RKS4_EXadL_ZNS_11silu_kernelIS2_EES4_S6_EETnPFT0_RKSA_EXadL_ZNS_18packed_silu_kernelIS3_EES4_S6_EELb0ELb1ELb0ELb1EEEvPS4_PS5_if,"axG",@progbits,_ZN4vllm18act_and_mul_kernelIN3c108BFloat16E15__hip_bfloat162TnPFT_RKS4_EXadL_ZNS_11silu_kernelIS2_EES4_S6_EETnPFT0_RKSA_EXadL_ZNS_18packed_silu_kernelIS3_EES4_S6_EELb0ELb1ELb0ELb1EEEvPS4_PS5_if,comdat
.Lfunc_end22:
	.size	_ZN4vllm18act_and_mul_kernelIN3c108BFloat16E15__hip_bfloat162TnPFT_RKS4_EXadL_ZNS_11silu_kernelIS2_EES4_S6_EETnPFT0_RKSA_EXadL_ZNS_18packed_silu_kernelIS3_EES4_S6_EELb0ELb1ELb0ELb1EEEvPS4_PS5_if, .Lfunc_end22-_ZN4vllm18act_and_mul_kernelIN3c108BFloat16E15__hip_bfloat162TnPFT_RKS4_EXadL_ZNS_11silu_kernelIS2_EES4_S6_EETnPFT0_RKSA_EXadL_ZNS_18packed_silu_kernelIS3_EES4_S6_EELb0ELb1ELb0ELb1EEEvPS4_PS5_if
                                        ; -- End function
	.section	.AMDGPU.csdata,"",@progbits
; Kernel info:
; codeLenInByte = 156
; NumSgprs: 36
; NumVgprs: 51
; ScratchSize: 64
; MemoryBound: 0
; FloatMode: 240
; IeeeMode: 1
; LDSByteSize: 0 bytes/workgroup (compile time only)
; SGPRBlocks: 4
; VGPRBlocks: 6
; NumSGPRsForWavesPerEU: 36
; NumVGPRsForWavesPerEU: 51
; Occupancy: 16
; WaveLimiterHint : 1
; COMPUTE_PGM_RSRC2:SCRATCH_EN: 1
; COMPUTE_PGM_RSRC2:USER_SGPR: 15
; COMPUTE_PGM_RSRC2:TRAP_HANDLER: 0
; COMPUTE_PGM_RSRC2:TGID_X_EN: 1
; COMPUTE_PGM_RSRC2:TGID_Y_EN: 0
; COMPUTE_PGM_RSRC2:TGID_Z_EN: 0
; COMPUTE_PGM_RSRC2:TIDIG_COMP_CNT: 0
	.section	.text._ZN4vllm18act_and_mul_kernelIf15HIP_vector_typeIfLj2EETnPFT_RKS3_EXadL_ZNS_11silu_kernelIfEES3_S5_EETnPFT0_RKS9_EXadL_ZNS_18packed_silu_kernelIS2_EES3_S5_EELb0ELb1ELb0ELb0EEEvPS3_PS4_if,"axG",@progbits,_ZN4vllm18act_and_mul_kernelIf15HIP_vector_typeIfLj2EETnPFT_RKS3_EXadL_ZNS_11silu_kernelIfEES3_S5_EETnPFT0_RKS9_EXadL_ZNS_18packed_silu_kernelIS2_EES3_S5_EELb0ELb1ELb0ELb0EEEvPS3_PS4_if,comdat
	.protected	_ZN4vllm18act_and_mul_kernelIf15HIP_vector_typeIfLj2EETnPFT_RKS3_EXadL_ZNS_11silu_kernelIfEES3_S5_EETnPFT0_RKS9_EXadL_ZNS_18packed_silu_kernelIS2_EES3_S5_EELb0ELb1ELb0ELb0EEEvPS3_PS4_if ; -- Begin function _ZN4vllm18act_and_mul_kernelIf15HIP_vector_typeIfLj2EETnPFT_RKS3_EXadL_ZNS_11silu_kernelIfEES3_S5_EETnPFT0_RKS9_EXadL_ZNS_18packed_silu_kernelIS2_EES3_S5_EELb0ELb1ELb0ELb0EEEvPS3_PS4_if
	.globl	_ZN4vllm18act_and_mul_kernelIf15HIP_vector_typeIfLj2EETnPFT_RKS3_EXadL_ZNS_11silu_kernelIfEES3_S5_EETnPFT0_RKS9_EXadL_ZNS_18packed_silu_kernelIS2_EES3_S5_EELb0ELb1ELb0ELb0EEEvPS3_PS4_if
	.p2align	8
	.type	_ZN4vllm18act_and_mul_kernelIf15HIP_vector_typeIfLj2EETnPFT_RKS3_EXadL_ZNS_11silu_kernelIfEES3_S5_EETnPFT0_RKS9_EXadL_ZNS_18packed_silu_kernelIS2_EES3_S5_EELb0ELb1ELb0ELb0EEEvPS3_PS4_if,@function
_ZN4vllm18act_and_mul_kernelIf15HIP_vector_typeIfLj2EETnPFT_RKS3_EXadL_ZNS_11silu_kernelIfEES3_S5_EETnPFT0_RKS9_EXadL_ZNS_18packed_silu_kernelIS2_EES3_S5_EELb0ELb1ELb0ELb0EEEvPS3_PS4_if: ; @_ZN4vllm18act_and_mul_kernelIf15HIP_vector_typeIfLj2EETnPFT_RKS3_EXadL_ZNS_11silu_kernelIfEES3_S5_EETnPFT0_RKS9_EXadL_ZNS_18packed_silu_kernelIS2_EES3_S5_EELb0ELb1ELb0ELb0EEEvPS3_PS4_if
; %bb.0:
	s_load_b32 s4, s[0:1], 0x10
	s_waitcnt lgkmcnt(0)
	s_ashr_i32 s5, s4, 31
	s_delay_alu instid0(SALU_CYCLE_1) | instskip(NEXT) | instid1(SALU_CYCLE_1)
	s_lshr_b32 s2, s5, 30
	s_add_i32 s2, s4, s2
	s_delay_alu instid0(SALU_CYCLE_1)
	s_ashr_i32 s6, s2, 2
	s_mov_b32 s2, exec_lo
	v_cmpx_gt_i32_e64 s6, v0
	s_cbranch_execz .LBB23_3
; %bb.1:
	s_clause 0x1
	s_load_b32 s7, s[0:1], 0x24
	s_load_b128 s[16:19], s[0:1], 0x0
	s_mul_i32 s0, s15, s4
	s_mov_b32 s3, 0
	s_lshl_b32 s2, s0, 1
	v_lshlrev_b32_e32 v5, 4, v0
	s_lshl_b64 s[8:9], s[2:3], 2
	s_mov_b32 s1, s3
	s_waitcnt lgkmcnt(0)
	s_and_b32 s7, s7, 0xffff
	s_add_u32 s2, s18, s8
	s_addc_u32 s9, s19, s9
	v_add_co_u32 v1, s2, s2, v5
	s_lshl_b64 s[0:1], s[0:1], 2
	s_lshl_b32 s8, s7, 4
	s_lshl_b64 s[4:5], s[4:5], 2
	v_add_co_ci_u32_e64 v2, null, s9, 0, s2
	s_add_u32 s0, s16, s0
	s_addc_u32 s1, s17, s1
	v_add_co_u32 v3, vcc_lo, v1, s4
	v_add_co_u32 v5, s0, s0, v5
	v_add_co_ci_u32_e32 v4, vcc_lo, s5, v2, vcc_lo
	v_add_co_ci_u32_e64 v6, null, s1, 0, s0
	s_mov_b64 s[4:5], 0
.LBB23_2:                               ; =>This Inner Loop Header: Depth=1
	s_delay_alu instid0(SALU_CYCLE_1) | instskip(NEXT) | instid1(VALU_DEP_3)
	v_add_co_u32 v7, vcc_lo, v3, s4
	v_add_co_ci_u32_e32 v8, vcc_lo, s5, v4, vcc_lo
	v_add_co_u32 v11, vcc_lo, v1, s4
	v_add_co_ci_u32_e32 v12, vcc_lo, s5, v2, vcc_lo
	v_add_co_u32 v15, vcc_lo, v5, s4
	s_clause 0x1
	global_load_b128 v[7:10], v[7:8], off
	global_load_b128 v[11:14], v[11:12], off
	v_add_co_ci_u32_e32 v16, vcc_lo, s5, v6, vcc_lo
	s_add_u32 s4, s4, s8
	s_addc_u32 s5, s5, 0
	s_waitcnt vmcnt(1)
	v_dual_mul_f32 v17, 0xbfb8aa3b, v7 :: v_dual_add_nc_u32 v0, s7, v0
	v_dual_mul_f32 v18, 0xbfb8aa3b, v8 :: v_dual_mul_f32 v19, 0xbfb8aa3b, v9
	v_mul_f32_e32 v20, 0xbfb8aa3b, v10
	v_cmp_nlt_f32_e32 vcc_lo, 0x42ce8ed0, v8
	s_delay_alu instid0(VALU_DEP_4)
	v_fma_f32 v21, 0xbfb8aa3b, v7, -v17
	v_rndne_f32_e32 v22, v17
	v_fma_f32 v23, 0xbfb8aa3b, v8, -v18
	v_rndne_f32_e32 v24, v18
	;; [unrolled: 2-line block ×3, first 2 shown]
	v_fma_f32 v25, 0xbfb8aa3b, v9, -v19
	s_delay_alu instid0(VALU_DEP_4) | instskip(NEXT) | instid1(VALU_DEP_3)
	v_dual_fmac_f32 v21, 0xb2a5705f, v7 :: v_dual_sub_f32 v18, v18, v24
	v_dual_sub_f32 v17, v17, v22 :: v_dual_sub_f32 v20, v20, v28
	v_fmac_f32_e32 v27, 0xb2a5705f, v10
	v_fmac_f32_e32 v23, 0xb2a5705f, v8
	v_cvt_i32_f32_e32 v24, v24
	v_cvt_i32_f32_e32 v28, v28
	v_cmp_nlt_f32_e64 s1, 0x42ce8ed0, v10
	v_dual_add_f32 v20, v20, v27 :: v_dual_fmac_f32 v25, 0xb2a5705f, v9
	v_add_f32_e32 v18, v18, v23
	v_rndne_f32_e32 v26, v19
	v_cvt_i32_f32_e32 v22, v22
	s_delay_alu instid0(VALU_DEP_4)
	v_exp_f32_e32 v20, v20
	v_cmp_nlt_f32_e64 s2, 0x42ce8ed0, v7
	v_exp_f32_e32 v18, v18
	v_cmp_nlt_f32_e64 s0, 0x42ce8ed0, v9
	s_waitcnt_depctr 0xfff
	v_ldexp_f32 v20, v20, v28
	v_ldexp_f32 v18, v18, v24
	v_add_f32_e32 v17, v17, v21
	s_delay_alu instid0(VALU_DEP_3) | instskip(SKIP_1) | instid1(VALU_DEP_4)
	v_cndmask_b32_e64 v20, 0, v20, s1
	v_cmp_ngt_f32_e64 s1, 0xc2b17218, v10
	v_cndmask_b32_e32 v18, 0, v18, vcc_lo
	s_delay_alu instid0(VALU_DEP_4) | instskip(SKIP_1) | instid1(VALU_DEP_3)
	v_exp_f32_e32 v17, v17
	v_cmp_ngt_f32_e32 vcc_lo, 0xc2b17218, v8
	v_cndmask_b32_e64 v20, 0x7f800000, v20, s1
	v_sub_f32_e32 v19, v19, v26
	v_cvt_i32_f32_e32 v26, v26
	v_cndmask_b32_e32 v18, 0x7f800000, v18, vcc_lo
	s_delay_alu instid0(VALU_DEP_3) | instskip(NEXT) | instid1(TRANS32_DEP_1)
	v_dual_add_f32 v20, 1.0, v20 :: v_dual_add_f32 v19, v19, v25
	v_ldexp_f32 v17, v17, v22
	s_delay_alu instid0(VALU_DEP_3) | instskip(NEXT) | instid1(VALU_DEP_3)
	v_add_f32_e32 v18, 1.0, v18
	v_div_scale_f32 v27, null, v20, v20, v10
	s_delay_alu instid0(VALU_DEP_3) | instskip(SKIP_4) | instid1(VALU_DEP_2)
	v_cndmask_b32_e64 v17, 0, v17, s2
	v_cmp_ngt_f32_e64 s2, 0xc2b17218, v7
	v_exp_f32_e32 v19, v19
	v_div_scale_f32 v23, null, v18, v18, v8
	v_rcp_f32_e32 v32, v27
	v_cndmask_b32_e64 v17, 0x7f800000, v17, s2
	v_div_scale_f32 v28, s2, v10, v20, v10
	s_delay_alu instid0(VALU_DEP_3) | instskip(NEXT) | instid1(VALU_DEP_2)
	v_rcp_f32_e32 v30, v23
	v_add_f32_e32 v17, 1.0, v17
	s_delay_alu instid0(TRANS32_DEP_3)
	v_ldexp_f32 v19, v19, v26
	s_waitcnt_depctr 0xfff
	v_fma_f32 v36, -v27, v32, 1.0
	v_div_scale_f32 v21, null, v17, v17, v7
	v_cndmask_b32_e64 v19, 0, v19, s0
	v_cmp_ngt_f32_e64 s0, 0xc2b17218, v9
	v_fma_f32 v34, -v23, v30, 1.0
	s_delay_alu instid0(VALU_DEP_4)
	v_rcp_f32_e32 v29, v21
	v_fmac_f32_e32 v32, v36, v32
	v_div_scale_f32 v22, vcc_lo, v7, v17, v7
	v_cndmask_b32_e64 v19, 0x7f800000, v19, s0
	v_fmac_f32_e32 v30, v34, v30
	v_div_scale_f32 v24, s0, v8, v18, v8
	s_delay_alu instid0(VALU_DEP_3) | instskip(NEXT) | instid1(TRANS32_DEP_1)
	v_dual_mul_f32 v36, v28, v32 :: v_dual_add_f32 v19, 1.0, v19
	v_fma_f32 v33, -v21, v29, 1.0
	s_delay_alu instid0(VALU_DEP_3) | instskip(NEXT) | instid1(VALU_DEP_3)
	v_mul_f32_e32 v34, v24, v30
	v_fma_f32 v40, -v27, v36, v28
	s_delay_alu instid0(VALU_DEP_4) | instskip(NEXT) | instid1(VALU_DEP_4)
	v_div_scale_f32 v25, null, v19, v19, v9
	v_fmac_f32_e32 v29, v33, v29
	s_delay_alu instid0(VALU_DEP_4) | instskip(SKIP_1) | instid1(VALU_DEP_4)
	v_fma_f32 v38, -v23, v34, v24
	v_div_scale_f32 v26, s1, v9, v19, v9
	v_rcp_f32_e32 v31, v25
	s_delay_alu instid0(VALU_DEP_3) | instskip(NEXT) | instid1(VALU_DEP_3)
	v_dual_mul_f32 v33, v22, v29 :: v_dual_fmac_f32 v36, v40, v32
	v_fmac_f32_e32 v34, v38, v30
	s_delay_alu instid0(VALU_DEP_2) | instskip(SKIP_3) | instid1(VALU_DEP_2)
	v_fma_f32 v37, -v21, v33, v22
	s_waitcnt_depctr 0xfff
	v_fma_f32 v35, -v25, v31, 1.0
	v_fmac_f32_e32 v33, v37, v29
	v_fmac_f32_e32 v31, v35, v31
	s_delay_alu instid0(VALU_DEP_2) | instskip(SKIP_2) | instid1(VALU_DEP_4)
	v_fma_f32 v21, -v21, v33, v22
	v_fma_f32 v22, -v23, v34, v24
	;; [unrolled: 1-line block ×3, first 2 shown]
	v_mul_f32_e32 v35, v26, v31
	s_delay_alu instid0(VALU_DEP_4) | instskip(SKIP_2) | instid1(VALU_DEP_3)
	v_div_fmas_f32 v21, v21, v29, v33
	s_mov_b32 vcc_lo, s0
	v_div_fmas_f32 v22, v22, v30, v34
	v_fma_f32 v39, -v25, v35, v26
	s_mov_b32 vcc_lo, s1
	v_div_fixup_f32 v7, v21, v17, v7
	s_delay_alu instid0(VALU_DEP_3) | instskip(SKIP_1) | instid1(VALU_DEP_1)
	v_div_fixup_f32 v8, v22, v18, v8
	s_waitcnt vmcnt(0)
	v_dual_fmac_f32 v35, v39, v31 :: v_dual_mul_f32 v8, v8, v12
	s_delay_alu instid0(VALU_DEP_1) | instskip(NEXT) | instid1(VALU_DEP_1)
	v_fma_f32 v23, -v25, v35, v26
	v_div_fmas_f32 v23, v23, v31, v35
	s_mov_b32 vcc_lo, s2
	v_div_fmas_f32 v24, v24, v32, v36
	v_cmp_le_i32_e32 vcc_lo, s6, v0
	s_delay_alu instid0(VALU_DEP_3) | instskip(NEXT) | instid1(VALU_DEP_3)
	v_div_fixup_f32 v9, v23, v19, v9
	v_div_fixup_f32 v10, v24, v20, v10
	v_mul_f32_e32 v7, v7, v11
	s_or_b32 s3, vcc_lo, s3
	s_delay_alu instid0(VALU_DEP_2)
	v_dual_mul_f32 v9, v9, v13 :: v_dual_mul_f32 v10, v10, v14
	global_store_b128 v[15:16], v[7:10], off
	s_and_not1_b32 exec_lo, exec_lo, s3
	s_cbranch_execnz .LBB23_2
.LBB23_3:
	s_nop 0
	s_sendmsg sendmsg(MSG_DEALLOC_VGPRS)
	s_endpgm
	.section	.rodata,"a",@progbits
	.p2align	6, 0x0
	.amdhsa_kernel _ZN4vllm18act_and_mul_kernelIf15HIP_vector_typeIfLj2EETnPFT_RKS3_EXadL_ZNS_11silu_kernelIfEES3_S5_EETnPFT0_RKS9_EXadL_ZNS_18packed_silu_kernelIS2_EES3_S5_EELb0ELb1ELb0ELb0EEEvPS3_PS4_if
		.amdhsa_group_segment_fixed_size 0
		.amdhsa_private_segment_fixed_size 0
		.amdhsa_kernarg_size 280
		.amdhsa_user_sgpr_count 15
		.amdhsa_user_sgpr_dispatch_ptr 0
		.amdhsa_user_sgpr_queue_ptr 0
		.amdhsa_user_sgpr_kernarg_segment_ptr 1
		.amdhsa_user_sgpr_dispatch_id 0
		.amdhsa_user_sgpr_private_segment_size 0
		.amdhsa_wavefront_size32 1
		.amdhsa_uses_dynamic_stack 0
		.amdhsa_enable_private_segment 0
		.amdhsa_system_sgpr_workgroup_id_x 1
		.amdhsa_system_sgpr_workgroup_id_y 0
		.amdhsa_system_sgpr_workgroup_id_z 0
		.amdhsa_system_sgpr_workgroup_info 0
		.amdhsa_system_vgpr_workitem_id 0
		.amdhsa_next_free_vgpr 41
		.amdhsa_next_free_sgpr 20
		.amdhsa_reserve_vcc 1
		.amdhsa_float_round_mode_32 0
		.amdhsa_float_round_mode_16_64 0
		.amdhsa_float_denorm_mode_32 3
		.amdhsa_float_denorm_mode_16_64 3
		.amdhsa_dx10_clamp 1
		.amdhsa_ieee_mode 1
		.amdhsa_fp16_overflow 0
		.amdhsa_workgroup_processor_mode 1
		.amdhsa_memory_ordered 1
		.amdhsa_forward_progress 0
		.amdhsa_shared_vgpr_count 0
		.amdhsa_exception_fp_ieee_invalid_op 0
		.amdhsa_exception_fp_denorm_src 0
		.amdhsa_exception_fp_ieee_div_zero 0
		.amdhsa_exception_fp_ieee_overflow 0
		.amdhsa_exception_fp_ieee_underflow 0
		.amdhsa_exception_fp_ieee_inexact 0
		.amdhsa_exception_int_div_zero 0
	.end_amdhsa_kernel
	.section	.text._ZN4vllm18act_and_mul_kernelIf15HIP_vector_typeIfLj2EETnPFT_RKS3_EXadL_ZNS_11silu_kernelIfEES3_S5_EETnPFT0_RKS9_EXadL_ZNS_18packed_silu_kernelIS2_EES3_S5_EELb0ELb1ELb0ELb0EEEvPS3_PS4_if,"axG",@progbits,_ZN4vllm18act_and_mul_kernelIf15HIP_vector_typeIfLj2EETnPFT_RKS3_EXadL_ZNS_11silu_kernelIfEES3_S5_EETnPFT0_RKS9_EXadL_ZNS_18packed_silu_kernelIS2_EES3_S5_EELb0ELb1ELb0ELb0EEEvPS3_PS4_if,comdat
.Lfunc_end23:
	.size	_ZN4vllm18act_and_mul_kernelIf15HIP_vector_typeIfLj2EETnPFT_RKS3_EXadL_ZNS_11silu_kernelIfEES3_S5_EETnPFT0_RKS9_EXadL_ZNS_18packed_silu_kernelIS2_EES3_S5_EELb0ELb1ELb0ELb0EEEvPS3_PS4_if, .Lfunc_end23-_ZN4vllm18act_and_mul_kernelIf15HIP_vector_typeIfLj2EETnPFT_RKS3_EXadL_ZNS_11silu_kernelIfEES3_S5_EETnPFT0_RKS9_EXadL_ZNS_18packed_silu_kernelIS2_EES3_S5_EELb0ELb1ELb0ELb0EEEvPS3_PS4_if
                                        ; -- End function
	.section	.AMDGPU.csdata,"",@progbits
; Kernel info:
; codeLenInByte = 1116
; NumSgprs: 22
; NumVgprs: 41
; ScratchSize: 0
; MemoryBound: 0
; FloatMode: 240
; IeeeMode: 1
; LDSByteSize: 0 bytes/workgroup (compile time only)
; SGPRBlocks: 2
; VGPRBlocks: 5
; NumSGPRsForWavesPerEU: 22
; NumVGPRsForWavesPerEU: 41
; Occupancy: 16
; WaveLimiterHint : 0
; COMPUTE_PGM_RSRC2:SCRATCH_EN: 0
; COMPUTE_PGM_RSRC2:USER_SGPR: 15
; COMPUTE_PGM_RSRC2:TRAP_HANDLER: 0
; COMPUTE_PGM_RSRC2:TGID_X_EN: 1
; COMPUTE_PGM_RSRC2:TGID_Y_EN: 0
; COMPUTE_PGM_RSRC2:TGID_Z_EN: 0
; COMPUTE_PGM_RSRC2:TIDIG_COMP_CNT: 0
	.section	.text._ZN4vllm18act_and_mul_kernelIN3c104HalfE7__half2TnPFT_RKS4_EXadL_ZNS_11silu_kernelIS2_EES4_S6_EETnPFT0_RKSA_EXadL_ZNS_18packed_silu_kernelIS3_EES4_S6_EELb0ELb1ELb0ELb0EEEvPS4_PS5_if,"axG",@progbits,_ZN4vllm18act_and_mul_kernelIN3c104HalfE7__half2TnPFT_RKS4_EXadL_ZNS_11silu_kernelIS2_EES4_S6_EETnPFT0_RKSA_EXadL_ZNS_18packed_silu_kernelIS3_EES4_S6_EELb0ELb1ELb0ELb0EEEvPS4_PS5_if,comdat
	.protected	_ZN4vllm18act_and_mul_kernelIN3c104HalfE7__half2TnPFT_RKS4_EXadL_ZNS_11silu_kernelIS2_EES4_S6_EETnPFT0_RKSA_EXadL_ZNS_18packed_silu_kernelIS3_EES4_S6_EELb0ELb1ELb0ELb0EEEvPS4_PS5_if ; -- Begin function _ZN4vllm18act_and_mul_kernelIN3c104HalfE7__half2TnPFT_RKS4_EXadL_ZNS_11silu_kernelIS2_EES4_S6_EETnPFT0_RKSA_EXadL_ZNS_18packed_silu_kernelIS3_EES4_S6_EELb0ELb1ELb0ELb0EEEvPS4_PS5_if
	.globl	_ZN4vllm18act_and_mul_kernelIN3c104HalfE7__half2TnPFT_RKS4_EXadL_ZNS_11silu_kernelIS2_EES4_S6_EETnPFT0_RKSA_EXadL_ZNS_18packed_silu_kernelIS3_EES4_S6_EELb0ELb1ELb0ELb0EEEvPS4_PS5_if
	.p2align	8
	.type	_ZN4vllm18act_and_mul_kernelIN3c104HalfE7__half2TnPFT_RKS4_EXadL_ZNS_11silu_kernelIS2_EES4_S6_EETnPFT0_RKSA_EXadL_ZNS_18packed_silu_kernelIS3_EES4_S6_EELb0ELb1ELb0ELb0EEEvPS4_PS5_if,@function
_ZN4vllm18act_and_mul_kernelIN3c104HalfE7__half2TnPFT_RKS4_EXadL_ZNS_11silu_kernelIS2_EES4_S6_EETnPFT0_RKSA_EXadL_ZNS_18packed_silu_kernelIS3_EES4_S6_EELb0ELb1ELb0ELb0EEEvPS4_PS5_if: ; @_ZN4vllm18act_and_mul_kernelIN3c104HalfE7__half2TnPFT_RKS4_EXadL_ZNS_11silu_kernelIS2_EES4_S6_EETnPFT0_RKSA_EXadL_ZNS_18packed_silu_kernelIS3_EES4_S6_EELb0ELb1ELb0ELb0EEEvPS4_PS5_if
; %bb.0:
	s_load_b32 s2, s[0:1], 0x10
	s_waitcnt lgkmcnt(0)
	s_ashr_i32 s3, s2, 31
	s_delay_alu instid0(SALU_CYCLE_1) | instskip(NEXT) | instid1(SALU_CYCLE_1)
	s_lshr_b32 s4, s3, 29
	s_add_i32 s4, s2, s4
	s_delay_alu instid0(SALU_CYCLE_1)
	s_ashr_i32 s10, s4, 3
	s_mov_b32 s4, exec_lo
	v_cmpx_gt_i32_e64 s10, v0
	s_cbranch_execz .LBB24_3
; %bb.1:
	s_clause 0x1
	s_load_b32 s8, s[0:1], 0x24
	s_load_b128 s[16:19], s[0:1], 0x0
	s_mul_i32 s0, s15, s2
	s_mov_b32 s7, 0
	s_lshl_b32 s6, s0, 1
	v_lshlrev_b32_e32 v1, 4, v0
	s_lshl_b64 s[4:5], s[6:7], 1
	s_mov_b32 s1, s7
	s_mov_b32 s13, 0xbfb8aa3b
	s_mov_b32 s14, 0xb2a5705f
	s_waitcnt lgkmcnt(0)
	s_and_b32 s11, s8, 0xffff
	s_add_u32 s4, s18, s4
	s_addc_u32 s5, s19, s5
	v_add_co_u32 v5, s4, s4, v1
	s_lshl_b64 s[0:1], s[0:1], 1
	s_lshl_b32 s12, s11, 4
	s_lshl_b64 s[2:3], s[2:3], 1
	v_add_co_ci_u32_e64 v6, null, s5, 0, s4
	s_add_u32 s0, s16, s0
	s_addc_u32 s1, s17, s1
	v_add_co_u32 v7, vcc_lo, v5, s2
	v_add_co_u32 v9, s0, s0, v1
	v_add_co_ci_u32_e32 v8, vcc_lo, s3, v6, vcc_lo
	v_add_co_ci_u32_e64 v10, null, s1, 0, s0
	s_mov_b64 s[8:9], 0
.LBB24_2:                               ; =>This Inner Loop Header: Depth=1
	s_delay_alu instid0(SALU_CYCLE_1) | instskip(NEXT) | instid1(VALU_DEP_3)
	v_add_co_u32 v1, vcc_lo, v7, s8
	v_add_co_ci_u32_e32 v2, vcc_lo, s9, v8, vcc_lo
	v_add_co_u32 v3, vcc_lo, v5, s8
	v_add_co_ci_u32_e32 v4, vcc_lo, s9, v6, vcc_lo
	v_add_co_u32 v15, vcc_lo, v9, s8
	s_clause 0x1
	global_load_b128 v[11:14], v[1:2], off
	global_load_b128 v[1:4], v[3:4], off
	v_add_co_ci_u32_e32 v16, vcc_lo, s9, v10, vcc_lo
	s_add_u32 s8, s8, s12
	s_addc_u32 s9, s9, 0
	v_add_nc_u32_e32 v0, s11, v0
	s_waitcnt vmcnt(1)
	v_cvt_f32_f16_e32 v18, v11
	v_cvt_f32_f16_e32 v20, v12
	v_lshrrev_b32_e32 v17, 16, v11
	v_cvt_f32_f16_e32 v22, v13
	v_cvt_f32_f16_e32 v24, v14
	s_delay_alu instid0(VALU_DEP_4) | instskip(SKIP_3) | instid1(VALU_DEP_4)
	v_dual_mul_f32 v25, 0xbfb8aa3b, v18 :: v_dual_mul_f32 v26, 0xbfb8aa3b, v20
	v_lshrrev_b32_e32 v19, 16, v12
	v_lshrrev_b32_e32 v21, 16, v13
	;; [unrolled: 1-line block ×3, first 2 shown]
	v_fma_mix_f32 v30, v11, s13, -v25 op_sel_hi:[1,0,0]
	v_rndne_f32_e32 v31, v25
	v_cvt_f32_f16_e32 v17, v17
	v_dual_mul_f32 v27, 0xbfb8aa3b, v22 :: v_dual_mul_f32 v28, 0xbfb8aa3b, v24
	v_fma_mix_f32 v33, v12, s13, -v26 op_sel_hi:[1,0,0]
	v_rndne_f32_e32 v34, v26
	v_fma_mix_f32 v30, v11, s14, v30 op_sel_hi:[1,0,0]
	v_sub_f32_e32 v25, v25, v31
	v_cvt_f32_f16_e32 v19, v19
	v_cvt_f32_f16_e32 v21, v21
	v_sub_f32_e32 v26, v26, v34
	v_cvt_f32_f16_e32 v23, v23
	s_delay_alu instid0(VALU_DEP_4)
	v_dual_mul_f32 v29, 0xbfb8aa3b, v17 :: v_dual_mul_f32 v32, 0xbfb8aa3b, v19
	v_fma_mix_f32 v36, v13, s13, -v27 op_sel_hi:[1,0,0]
	v_rndne_f32_e32 v37, v27
	v_fma_mix_f32 v39, v14, s13, -v28 op_sel_hi:[1,0,0]
	v_rndne_f32_e32 v40, v28
	v_fma_mix_f32 v33, v12, s14, v33 op_sel_hi:[1,0,0]
	v_add_f32_e32 v25, v25, v30
	v_dual_mul_f32 v35, 0xbfb8aa3b, v21 :: v_dual_mul_f32 v38, 0xbfb8aa3b, v23
	v_fma_mix_f32 v41, v11, s13, -v29 op_sel:[1,0,0] op_sel_hi:[1,0,0]
	v_rndne_f32_e32 v42, v29
	v_fma_mix_f32 v36, v13, s14, v36 op_sel_hi:[1,0,0]
	v_dual_sub_f32 v27, v27, v37 :: v_dual_sub_f32 v28, v28, v40
	v_fma_mix_f32 v39, v14, s14, v39 op_sel_hi:[1,0,0]
	v_add_f32_e32 v26, v26, v33
	v_exp_f32_e32 v25, v25
	v_fma_mix_f32 v43, v12, s13, -v32 op_sel:[1,0,0] op_sel_hi:[1,0,0]
	v_rndne_f32_e32 v44, v32
	v_cvt_i32_f32_e32 v31, v31
	v_fma_mix_f32 v45, v13, s13, -v35 op_sel:[1,0,0] op_sel_hi:[1,0,0]
	v_rndne_f32_e32 v46, v35
	v_fma_mix_f32 v47, v14, s13, -v38 op_sel:[1,0,0] op_sel_hi:[1,0,0]
	v_rndne_f32_e32 v48, v38
	v_fma_mix_f32 v11, v11, s14, v41 op_sel:[1,0,0] op_sel_hi:[1,0,0]
	v_dual_sub_f32 v29, v29, v42 :: v_dual_sub_f32 v30, v32, v44
	v_dual_add_f32 v27, v27, v36 :: v_dual_add_f32 v28, v28, v39
	v_fma_mix_f32 v12, v12, s14, v43 op_sel:[1,0,0] op_sel_hi:[1,0,0]
	v_fma_mix_f32 v13, v13, s14, v45 op_sel:[1,0,0] op_sel_hi:[1,0,0]
	v_dual_sub_f32 v33, v35, v46 :: v_dual_sub_f32 v36, v38, v48
	v_fma_mix_f32 v14, v14, s14, v47 op_sel:[1,0,0] op_sel_hi:[1,0,0]
	s_delay_alu instid0(VALU_DEP_4)
	v_dual_add_f32 v11, v29, v11 :: v_dual_add_f32 v12, v30, v12
	v_exp_f32_e32 v26, v26
	v_exp_f32_e32 v28, v28
	v_ldexp_f32 v25, v25, v31
	v_cmp_nlt_f32_e64 s2, 0x42ce8ed0, v18
	v_cvt_i32_f32_e32 v34, v34
	v_cvt_i32_f32_e32 v40, v40
	v_dual_add_f32 v13, v33, v13 :: v_dual_add_f32 v14, v36, v14
	v_exp_f32_e32 v27, v27
	v_exp_f32_e32 v11, v11
	v_cndmask_b32_e64 v25, 0, v25, s2
	v_cmp_ngt_f32_e64 s2, 0xc2b17218, v18
	v_exp_f32_e32 v12, v12
	v_cvt_i32_f32_e32 v37, v37
	v_cvt_i32_f32_e32 v41, v42
	v_exp_f32_e32 v13, v13
	v_exp_f32_e32 v14, v14
	v_ldexp_f32 v26, v26, v34
	v_cmp_nlt_f32_e32 vcc_lo, 0x42ce8ed0, v20
	v_ldexp_f32 v28, v28, v40
	v_cmp_nlt_f32_e64 s1, 0x42ce8ed0, v24
	v_cndmask_b32_e64 v25, 0x7f800000, v25, s2
	v_cvt_i32_f32_e32 v32, v44
	v_cvt_i32_f32_e32 v35, v46
	;; [unrolled: 1-line block ×3, first 2 shown]
	v_ldexp_f32 v27, v27, v37
	v_cmp_nlt_f32_e64 s0, 0x42ce8ed0, v22
	v_ldexp_f32 v11, v11, v41
	v_dual_cndmask_b32 v26, 0, v26 :: v_dual_add_f32 v25, 1.0, v25
	v_cndmask_b32_e64 v28, 0, v28, s1
	v_cmp_ngt_f32_e64 s1, 0xc2b17218, v24
	v_cmp_nlt_f32_e64 s6, 0x42ce8ed0, v17
	v_ldexp_f32 v12, v12, v32
	v_cmp_nlt_f32_e64 s3, 0x42ce8ed0, v19
	v_cmp_ngt_f32_e32 vcc_lo, 0xc2b17218, v20
	v_ldexp_f32 v13, v13, v35
	v_cmp_nlt_f32_e64 s4, 0x42ce8ed0, v21
	v_cndmask_b32_e64 v27, 0, v27, s0
	v_cmp_ngt_f32_e64 s0, 0xc2b17218, v22
	v_ldexp_f32 v14, v14, v38
	v_cmp_nlt_f32_e64 s5, 0x42ce8ed0, v23
	v_cndmask_b32_e64 v11, 0, v11, s6
	v_cndmask_b32_e64 v28, 0x7f800000, v28, s1
	v_cmp_ngt_f32_e64 s1, 0xc2b17218, v17
	v_div_scale_f32 v29, null, v25, v25, v18
	v_cndmask_b32_e64 v12, 0, v12, s3
	v_cmp_ngt_f32_e64 s2, 0xc2b17218, v19
	v_cndmask_b32_e64 v13, 0, v13, s4
	v_cndmask_b32_e64 v27, 0x7f800000, v27, s0
	v_cndmask_b32_e32 v26, 0x7f800000, v26, vcc_lo
	v_cmp_ngt_f32_e32 vcc_lo, 0xc2b17218, v21
	v_cndmask_b32_e64 v14, 0, v14, s5
	v_cmp_ngt_f32_e64 s0, 0xc2b17218, v23
	v_add_f32_e32 v27, 1.0, v27
	v_cndmask_b32_e64 v11, 0x7f800000, v11, s1
	v_rcp_f32_e32 v39, v29
	v_cndmask_b32_e64 v12, 0x7f800000, v12, s2
	v_dual_add_f32 v26, 1.0, v26 :: v_dual_cndmask_b32 v13, 0x7f800000, v13
	v_cndmask_b32_e64 v14, 0x7f800000, v14, s0
	v_dual_add_f32 v28, 1.0, v28 :: v_dual_add_f32 v11, 1.0, v11
	s_delay_alu instid0(VALU_DEP_3) | instskip(NEXT) | instid1(VALU_DEP_4)
	v_dual_add_f32 v12, 1.0, v12 :: v_dual_add_f32 v13, 1.0, v13
	v_div_scale_f32 v31, null, v26, v26, v20
	v_div_scale_f32 v33, null, v27, v27, v22
	s_delay_alu instid0(VALU_DEP_4)
	v_div_scale_f32 v35, null, v28, v28, v24
	v_div_scale_f32 v37, null, v11, v11, v17
	v_fma_f32 v53, -v29, v39, 1.0
	v_add_f32_e32 v14, 1.0, v14
	v_div_scale_f32 v40, null, v12, v12, v19
	v_rcp_f32_e32 v42, v31
	s_delay_alu instid0(VALU_DEP_3)
	v_fmac_f32_e32 v39, v53, v39
	v_div_scale_f32 v43, null, v13, v13, v21
	v_rcp_f32_e32 v45, v33
	v_div_scale_f32 v46, null, v14, v14, v23
	v_rcp_f32_e32 v48, v35
	v_rcp_f32_e32 v49, v37
	;; [unrolled: 1-line block ×5, first 2 shown]
	v_fma_f32 v54, -v31, v42, 1.0
	v_div_scale_f32 v30, s0, v18, v25, v18
	v_fma_f32 v55, -v33, v45, 1.0
	v_div_scale_f32 v32, s1, v20, v26, v20
	v_fma_f32 v56, -v35, v48, 1.0
	v_fma_f32 v57, -v37, v49, 1.0
	s_delay_alu instid0(TRANS32_DEP_3)
	v_fma_f32 v53, -v40, v50, 1.0
	v_div_scale_f32 v34, s2, v22, v27, v22
	v_div_scale_f32 v38, vcc_lo, v17, v11, v17
	v_dual_fmac_f32 v42, v54, v42 :: v_dual_fmac_f32 v45, v55, v45
	v_fma_f32 v54, -v43, v51, 1.0
	v_fma_f32 v55, -v46, v52, 1.0
	v_dual_fmac_f32 v48, v56, v48 :: v_dual_fmac_f32 v49, v57, v49
	v_div_scale_f32 v41, s4, v19, v12, v19
	v_mul_f32_e32 v56, v30, v39
	v_dual_fmac_f32 v50, v53, v50 :: v_dual_fmac_f32 v51, v54, v51
	v_div_scale_f32 v36, s3, v24, v28, v24
	v_dual_mul_f32 v53, v32, v42 :: v_dual_mul_f32 v54, v34, v45
	v_dual_fmac_f32 v52, v55, v52 :: v_dual_mul_f32 v57, v38, v49
	v_div_scale_f32 v44, s5, v21, v13, v21
	v_fma_f32 v58, -v29, v56, v30
	v_mul_f32_e32 v59, v41, v50
	v_mul_f32_e32 v55, v36, v48
	v_fma_f32 v60, -v31, v53, v32
	v_fma_f32 v62, -v33, v54, v34
	v_fmac_f32_e32 v56, v58, v39
	v_fma_f32 v65, -v37, v57, v38
	v_div_scale_f32 v47, s6, v23, v14, v23
	s_delay_alu instid0(VALU_DEP_4)
	v_dual_mul_f32 v61, v44, v51 :: v_dual_fmac_f32 v54, v62, v45
	v_fma_f32 v58, -v40, v59, v41
	v_fmac_f32_e32 v53, v60, v42
	v_fmac_f32_e32 v57, v65, v49
	v_mul_f32_e32 v63, v47, v52
	v_fma_f32 v64, -v35, v55, v36
	v_fma_f32 v60, -v43, v61, v44
	v_fmac_f32_e32 v59, v58, v50
	v_fma_f32 v29, -v29, v56, v30
	v_fma_f32 v30, -v31, v53, v32
	;; [unrolled: 1-line block ×5, first 2 shown]
	v_fmac_f32_e32 v55, v64, v48
	v_fmac_f32_e32 v61, v60, v51
	v_fma_f32 v34, -v40, v59, v41
	v_div_fmas_f32 v33, v33, v49, v57
	s_mov_b32 vcc_lo, s0
	v_fmac_f32_e32 v63, v62, v52
	v_div_fmas_f32 v29, v29, v39, v56
	s_mov_b32 vcc_lo, s4
	v_fma_f32 v32, -v35, v55, v36
	v_fma_f32 v35, -v43, v61, v44
	v_div_fmas_f32 v34, v34, v50, v59
	s_mov_b32 vcc_lo, s1
	v_div_fixup_f32 v11, v33, v11, v17
	v_div_fmas_f32 v17, v30, v42, v53
	s_mov_b32 vcc_lo, s5
	v_fma_f32 v36, -v46, v63, v47
	v_div_fixup_f32 v18, v29, v25, v18
	v_div_fmas_f32 v25, v35, v51, v61
	s_mov_b32 vcc_lo, s2
	v_div_fixup_f32 v12, v34, v12, v19
	v_div_fmas_f32 v19, v31, v45, v54
	s_mov_b32 vcc_lo, s6
	;; [unrolled: 3-line block ×3, first 2 shown]
	v_div_fixup_f32 v13, v25, v13, v21
	v_div_fmas_f32 v26, v32, v48, v55
	v_div_fixup_f32 v19, v19, v27, v22
	v_div_fixup_f32 v14, v20, v14, v23
	v_cvt_f16_f32_e32 v11, v11
	v_cvt_f16_f32_e32 v18, v18
	v_div_fixup_f32 v20, v26, v28, v24
	v_cvt_f16_f32_e32 v12, v12
	v_cvt_f16_f32_e32 v17, v17
	;; [unrolled: 1-line block ×6, first 2 shown]
	v_pack_b32_f16 v11, v18, v11
	v_pack_b32_f16 v12, v17, v12
	;; [unrolled: 1-line block ×3, first 2 shown]
	v_cmp_le_i32_e32 vcc_lo, s10, v0
	v_pack_b32_f16 v14, v20, v14
	s_waitcnt vmcnt(0)
	v_pk_mul_f16 v1, v11, v1
	v_pk_mul_f16 v2, v12, v2
	;; [unrolled: 1-line block ×3, first 2 shown]
	s_or_b32 s7, vcc_lo, s7
	v_pk_mul_f16 v4, v14, v4
	global_store_b128 v[15:16], v[1:4], off
	s_and_not1_b32 exec_lo, exec_lo, s7
	s_cbranch_execnz .LBB24_2
.LBB24_3:
	s_nop 0
	s_sendmsg sendmsg(MSG_DEALLOC_VGPRS)
	s_endpgm
	.section	.rodata,"a",@progbits
	.p2align	6, 0x0
	.amdhsa_kernel _ZN4vllm18act_and_mul_kernelIN3c104HalfE7__half2TnPFT_RKS4_EXadL_ZNS_11silu_kernelIS2_EES4_S6_EETnPFT0_RKSA_EXadL_ZNS_18packed_silu_kernelIS3_EES4_S6_EELb0ELb1ELb0ELb0EEEvPS4_PS5_if
		.amdhsa_group_segment_fixed_size 0
		.amdhsa_private_segment_fixed_size 0
		.amdhsa_kernarg_size 280
		.amdhsa_user_sgpr_count 15
		.amdhsa_user_sgpr_dispatch_ptr 0
		.amdhsa_user_sgpr_queue_ptr 0
		.amdhsa_user_sgpr_kernarg_segment_ptr 1
		.amdhsa_user_sgpr_dispatch_id 0
		.amdhsa_user_sgpr_private_segment_size 0
		.amdhsa_wavefront_size32 1
		.amdhsa_uses_dynamic_stack 0
		.amdhsa_enable_private_segment 0
		.amdhsa_system_sgpr_workgroup_id_x 1
		.amdhsa_system_sgpr_workgroup_id_y 0
		.amdhsa_system_sgpr_workgroup_id_z 0
		.amdhsa_system_sgpr_workgroup_info 0
		.amdhsa_system_vgpr_workitem_id 0
		.amdhsa_next_free_vgpr 66
		.amdhsa_next_free_sgpr 20
		.amdhsa_reserve_vcc 1
		.amdhsa_float_round_mode_32 0
		.amdhsa_float_round_mode_16_64 0
		.amdhsa_float_denorm_mode_32 3
		.amdhsa_float_denorm_mode_16_64 3
		.amdhsa_dx10_clamp 1
		.amdhsa_ieee_mode 1
		.amdhsa_fp16_overflow 0
		.amdhsa_workgroup_processor_mode 1
		.amdhsa_memory_ordered 1
		.amdhsa_forward_progress 0
		.amdhsa_shared_vgpr_count 0
		.amdhsa_exception_fp_ieee_invalid_op 0
		.amdhsa_exception_fp_denorm_src 0
		.amdhsa_exception_fp_ieee_div_zero 0
		.amdhsa_exception_fp_ieee_overflow 0
		.amdhsa_exception_fp_ieee_underflow 0
		.amdhsa_exception_fp_ieee_inexact 0
		.amdhsa_exception_int_div_zero 0
	.end_amdhsa_kernel
	.section	.text._ZN4vllm18act_and_mul_kernelIN3c104HalfE7__half2TnPFT_RKS4_EXadL_ZNS_11silu_kernelIS2_EES4_S6_EETnPFT0_RKSA_EXadL_ZNS_18packed_silu_kernelIS3_EES4_S6_EELb0ELb1ELb0ELb0EEEvPS4_PS5_if,"axG",@progbits,_ZN4vllm18act_and_mul_kernelIN3c104HalfE7__half2TnPFT_RKS4_EXadL_ZNS_11silu_kernelIS2_EES4_S6_EETnPFT0_RKSA_EXadL_ZNS_18packed_silu_kernelIS3_EES4_S6_EELb0ELb1ELb0ELb0EEEvPS4_PS5_if,comdat
.Lfunc_end24:
	.size	_ZN4vllm18act_and_mul_kernelIN3c104HalfE7__half2TnPFT_RKS4_EXadL_ZNS_11silu_kernelIS2_EES4_S6_EETnPFT0_RKSA_EXadL_ZNS_18packed_silu_kernelIS3_EES4_S6_EELb0ELb1ELb0ELb0EEEvPS4_PS5_if, .Lfunc_end24-_ZN4vllm18act_and_mul_kernelIN3c104HalfE7__half2TnPFT_RKS4_EXadL_ZNS_11silu_kernelIS2_EES4_S6_EETnPFT0_RKSA_EXadL_ZNS_18packed_silu_kernelIS3_EES4_S6_EELb0ELb1ELb0ELb0EEEvPS4_PS5_if
                                        ; -- End function
	.section	.AMDGPU.csdata,"",@progbits
; Kernel info:
; codeLenInByte = 1856
; NumSgprs: 22
; NumVgprs: 66
; ScratchSize: 0
; MemoryBound: 0
; FloatMode: 240
; IeeeMode: 1
; LDSByteSize: 0 bytes/workgroup (compile time only)
; SGPRBlocks: 2
; VGPRBlocks: 8
; NumSGPRsForWavesPerEU: 22
; NumVGPRsForWavesPerEU: 66
; Occupancy: 16
; WaveLimiterHint : 0
; COMPUTE_PGM_RSRC2:SCRATCH_EN: 0
; COMPUTE_PGM_RSRC2:USER_SGPR: 15
; COMPUTE_PGM_RSRC2:TRAP_HANDLER: 0
; COMPUTE_PGM_RSRC2:TGID_X_EN: 1
; COMPUTE_PGM_RSRC2:TGID_Y_EN: 0
; COMPUTE_PGM_RSRC2:TGID_Z_EN: 0
; COMPUTE_PGM_RSRC2:TIDIG_COMP_CNT: 0
	.section	.text._ZN4vllm18act_and_mul_kernelIN3c108BFloat16E15__hip_bfloat162TnPFT_RKS4_EXadL_ZNS_11silu_kernelIS2_EES4_S6_EETnPFT0_RKSA_EXadL_ZNS_18packed_silu_kernelIS3_EES4_S6_EELb0ELb1ELb0ELb0EEEvPS4_PS5_if,"axG",@progbits,_ZN4vllm18act_and_mul_kernelIN3c108BFloat16E15__hip_bfloat162TnPFT_RKS4_EXadL_ZNS_11silu_kernelIS2_EES4_S6_EETnPFT0_RKSA_EXadL_ZNS_18packed_silu_kernelIS3_EES4_S6_EELb0ELb1ELb0ELb0EEEvPS4_PS5_if,comdat
	.protected	_ZN4vllm18act_and_mul_kernelIN3c108BFloat16E15__hip_bfloat162TnPFT_RKS4_EXadL_ZNS_11silu_kernelIS2_EES4_S6_EETnPFT0_RKSA_EXadL_ZNS_18packed_silu_kernelIS3_EES4_S6_EELb0ELb1ELb0ELb0EEEvPS4_PS5_if ; -- Begin function _ZN4vllm18act_and_mul_kernelIN3c108BFloat16E15__hip_bfloat162TnPFT_RKS4_EXadL_ZNS_11silu_kernelIS2_EES4_S6_EETnPFT0_RKSA_EXadL_ZNS_18packed_silu_kernelIS3_EES4_S6_EELb0ELb1ELb0ELb0EEEvPS4_PS5_if
	.globl	_ZN4vllm18act_and_mul_kernelIN3c108BFloat16E15__hip_bfloat162TnPFT_RKS4_EXadL_ZNS_11silu_kernelIS2_EES4_S6_EETnPFT0_RKSA_EXadL_ZNS_18packed_silu_kernelIS3_EES4_S6_EELb0ELb1ELb0ELb0EEEvPS4_PS5_if
	.p2align	8
	.type	_ZN4vllm18act_and_mul_kernelIN3c108BFloat16E15__hip_bfloat162TnPFT_RKS4_EXadL_ZNS_11silu_kernelIS2_EES4_S6_EETnPFT0_RKSA_EXadL_ZNS_18packed_silu_kernelIS3_EES4_S6_EELb0ELb1ELb0ELb0EEEvPS4_PS5_if,@function
_ZN4vllm18act_and_mul_kernelIN3c108BFloat16E15__hip_bfloat162TnPFT_RKS4_EXadL_ZNS_11silu_kernelIS2_EES4_S6_EETnPFT0_RKSA_EXadL_ZNS_18packed_silu_kernelIS3_EES4_S6_EELb0ELb1ELb0ELb0EEEvPS4_PS5_if: ; @_ZN4vllm18act_and_mul_kernelIN3c108BFloat16E15__hip_bfloat162TnPFT_RKS4_EXadL_ZNS_11silu_kernelIS2_EES4_S6_EETnPFT0_RKSA_EXadL_ZNS_18packed_silu_kernelIS3_EES4_S6_EELb0ELb1ELb0ELb0EEEvPS4_PS5_if
; %bb.0:
	s_load_b32 s2, s[0:1], 0x10
	s_mov_b32 s5, exec_lo
	s_waitcnt lgkmcnt(0)
	s_ashr_i32 s3, s2, 31
	s_delay_alu instid0(SALU_CYCLE_1) | instskip(NEXT) | instid1(SALU_CYCLE_1)
	s_lshr_b32 s4, s3, 29
	s_add_i32 s4, s2, s4
	s_delay_alu instid0(SALU_CYCLE_1) | instskip(NEXT) | instid1(SALU_CYCLE_1)
	s_ashr_i32 s4, s4, 3
	v_cmpx_gt_i32_e64 s4, v0
	s_cbranch_execz .LBB25_67
; %bb.1:
	s_clause 0x1
	s_load_b32 s5, s[0:1], 0x24
	s_load_b128 s[8:11], s[0:1], 0x0
	s_mul_i32 s12, s15, s2
	s_mov_b32 s1, 0
	s_lshl_b32 s0, s12, 1
	v_lshlrev_b32_e32 v1, 4, v0
	s_lshl_b64 s[6:7], s[0:1], 1
	s_mov_b32 s13, s1
	s_waitcnt lgkmcnt(0)
	s_and_b32 s5, s5, 0xffff
	s_add_u32 s0, s10, s6
	s_addc_u32 s7, s11, s7
	v_add_co_u32 v9, s0, s0, v1
	s_lshl_b64 s[10:11], s[12:13], 1
	s_lshl_b32 s6, s5, 4
	s_lshl_b64 s[2:3], s[2:3], 1
	v_add_co_ci_u32_e64 v10, null, s7, 0, s0
	s_add_u32 s0, s8, s10
	s_addc_u32 s7, s9, s11
	v_add_co_u32 v11, vcc_lo, v9, s2
	v_add_co_u32 v13, s0, s0, v1
	v_add_co_ci_u32_e32 v12, vcc_lo, s3, v10, vcc_lo
	v_add_co_ci_u32_e64 v14, null, s7, 0, s0
	s_mov_b64 s[2:3], 0
	s_branch .LBB25_3
.LBB25_2:                               ;   in Loop: Header=BB25_3 Depth=1
	s_or_b32 exec_lo, exec_lo, s0
	v_add_nc_u32_e32 v0, s5, v0
	v_perm_b32 v1, v1, v5, 0x7060302
	v_add_co_u32 v5, s0, v13, s2
	v_perm_b32 v4, v4, v8, 0x7060302
	s_delay_alu instid0(VALU_DEP_4)
	v_cmp_le_i32_e32 vcc_lo, s4, v0
	v_perm_b32 v3, v3, v7, 0x7060302
	v_perm_b32 v2, v2, v6, 0x7060302
	v_add_co_ci_u32_e64 v6, s0, s3, v14, s0
	s_add_u32 s2, s2, s6
	s_addc_u32 s3, s3, 0
	s_or_b32 s1, vcc_lo, s1
	global_store_b128 v[5:6], v[1:4], off
	s_and_not1_b32 exec_lo, exec_lo, s1
	s_cbranch_execz .LBB25_67
.LBB25_3:                               ; =>This Inner Loop Header: Depth=1
	v_add_co_u32 v1, vcc_lo, v11, s2
	v_add_co_ci_u32_e32 v2, vcc_lo, s3, v12, vcc_lo
	global_load_b128 v[5:8], v[1:2], off
	v_add_co_u32 v1, vcc_lo, v9, s2
	v_add_co_ci_u32_e32 v2, vcc_lo, s3, v10, vcc_lo
	global_load_b128 v[1:4], v[1:2], off
	s_waitcnt vmcnt(1)
	v_lshlrev_b32_e32 v15, 16, v5
	s_delay_alu instid0(VALU_DEP_1) | instskip(NEXT) | instid1(VALU_DEP_1)
	v_mul_f32_e32 v16, 0xbfb8aa3b, v15
	v_fma_f32 v17, 0xbfb8aa3b, v15, -v16
	v_rndne_f32_e32 v18, v16
	s_delay_alu instid0(VALU_DEP_1) | instskip(SKIP_1) | instid1(VALU_DEP_4)
	v_sub_f32_e32 v16, v16, v18
	v_cmp_nlt_f32_e32 vcc_lo, 0x42ce8ed0, v15
	v_fmac_f32_e32 v17, 0xb2a5705f, v15
	s_delay_alu instid0(VALU_DEP_1) | instskip(SKIP_1) | instid1(VALU_DEP_2)
	v_add_f32_e32 v16, v16, v17
	v_cvt_i32_f32_e32 v17, v18
	v_exp_f32_e32 v16, v16
	s_waitcnt_depctr 0xfff
	v_ldexp_f32 v16, v16, v17
	s_delay_alu instid0(VALU_DEP_1) | instskip(SKIP_1) | instid1(VALU_DEP_2)
	v_cndmask_b32_e32 v16, 0, v16, vcc_lo
	v_cmp_ngt_f32_e32 vcc_lo, 0xc2b17218, v15
	v_cndmask_b32_e32 v16, 0x7f800000, v16, vcc_lo
	s_delay_alu instid0(VALU_DEP_1) | instskip(NEXT) | instid1(VALU_DEP_1)
	v_add_f32_e32 v16, 1.0, v16
	v_div_scale_f32 v17, null, v16, v16, v15
	s_delay_alu instid0(VALU_DEP_1) | instskip(SKIP_2) | instid1(VALU_DEP_1)
	v_rcp_f32_e32 v18, v17
	s_waitcnt_depctr 0xfff
	v_fma_f32 v19, -v17, v18, 1.0
	v_fmac_f32_e32 v18, v19, v18
	v_div_scale_f32 v19, vcc_lo, v15, v16, v15
	s_delay_alu instid0(VALU_DEP_1) | instskip(NEXT) | instid1(VALU_DEP_1)
	v_mul_f32_e32 v20, v19, v18
	v_fma_f32 v21, -v17, v20, v19
	s_delay_alu instid0(VALU_DEP_1) | instskip(NEXT) | instid1(VALU_DEP_1)
	v_fmac_f32_e32 v20, v21, v18
	v_fma_f32 v17, -v17, v20, v19
	s_delay_alu instid0(VALU_DEP_1) | instskip(NEXT) | instid1(VALU_DEP_1)
	v_div_fmas_f32 v17, v17, v18, v20
	v_div_fixup_f32 v16, v17, v16, v15
	s_delay_alu instid0(VALU_DEP_1) | instskip(NEXT) | instid1(VALU_DEP_1)
	v_and_b32_e32 v15, 0x7f800000, v16
	v_cmp_ne_u32_e32 vcc_lo, 0x7f800000, v15
                                        ; implicit-def: $vgpr15
	s_and_saveexec_b32 s0, vcc_lo
	s_delay_alu instid0(SALU_CYCLE_1)
	s_xor_b32 s0, exec_lo, s0
; %bb.4:                                ;   in Loop: Header=BB25_3 Depth=1
	v_bfe_u32 v15, v16, 16, 1
	s_delay_alu instid0(VALU_DEP_1)
	v_add3_u32 v15, v16, v15, 0x7fff
                                        ; implicit-def: $vgpr16
; %bb.5:                                ;   in Loop: Header=BB25_3 Depth=1
	s_and_not1_saveexec_b32 s0, s0
; %bb.6:                                ;   in Loop: Header=BB25_3 Depth=1
	v_and_b32_e32 v15, 0xffff, v16
	v_or_b32_e32 v17, 0x10000, v16
	s_delay_alu instid0(VALU_DEP_2) | instskip(NEXT) | instid1(VALU_DEP_2)
	v_cmp_eq_u32_e32 vcc_lo, 0, v15
	v_cndmask_b32_e32 v15, v17, v16, vcc_lo
; %bb.7:                                ;   in Loop: Header=BB25_3 Depth=1
	s_or_b32 exec_lo, exec_lo, s0
	v_and_b32_e32 v5, 0xffff0000, v5
	s_delay_alu instid0(VALU_DEP_1) | instskip(NEXT) | instid1(VALU_DEP_1)
	v_mul_f32_e32 v16, 0xbfb8aa3b, v5
	v_fma_f32 v17, 0xbfb8aa3b, v5, -v16
	v_rndne_f32_e32 v18, v16
	s_delay_alu instid0(VALU_DEP_1) | instskip(SKIP_1) | instid1(VALU_DEP_4)
	v_sub_f32_e32 v16, v16, v18
	v_cmp_nlt_f32_e32 vcc_lo, 0x42ce8ed0, v5
	v_fmac_f32_e32 v17, 0xb2a5705f, v5
	s_delay_alu instid0(VALU_DEP_1) | instskip(SKIP_1) | instid1(VALU_DEP_2)
	v_add_f32_e32 v16, v16, v17
	v_cvt_i32_f32_e32 v17, v18
	v_exp_f32_e32 v16, v16
	s_waitcnt_depctr 0xfff
	v_ldexp_f32 v16, v16, v17
	s_delay_alu instid0(VALU_DEP_1) | instskip(SKIP_1) | instid1(VALU_DEP_2)
	v_cndmask_b32_e32 v16, 0, v16, vcc_lo
	v_cmp_ngt_f32_e32 vcc_lo, 0xc2b17218, v5
	v_cndmask_b32_e32 v16, 0x7f800000, v16, vcc_lo
	s_delay_alu instid0(VALU_DEP_1) | instskip(NEXT) | instid1(VALU_DEP_1)
	v_add_f32_e32 v16, 1.0, v16
	v_div_scale_f32 v17, null, v16, v16, v5
	s_delay_alu instid0(VALU_DEP_1) | instskip(SKIP_2) | instid1(VALU_DEP_1)
	v_rcp_f32_e32 v18, v17
	s_waitcnt_depctr 0xfff
	v_fma_f32 v19, -v17, v18, 1.0
	v_fmac_f32_e32 v18, v19, v18
	v_div_scale_f32 v19, vcc_lo, v5, v16, v5
	s_delay_alu instid0(VALU_DEP_1) | instskip(NEXT) | instid1(VALU_DEP_1)
	v_mul_f32_e32 v20, v19, v18
	v_fma_f32 v21, -v17, v20, v19
	s_delay_alu instid0(VALU_DEP_1) | instskip(NEXT) | instid1(VALU_DEP_1)
	v_fmac_f32_e32 v20, v21, v18
	v_fma_f32 v17, -v17, v20, v19
	s_delay_alu instid0(VALU_DEP_1) | instskip(NEXT) | instid1(VALU_DEP_1)
	v_div_fmas_f32 v17, v17, v18, v20
	v_div_fixup_f32 v5, v17, v16, v5
	s_delay_alu instid0(VALU_DEP_1) | instskip(NEXT) | instid1(VALU_DEP_1)
	v_and_b32_e32 v16, 0x7f800000, v5
	v_cmp_ne_u32_e32 vcc_lo, 0x7f800000, v16
                                        ; implicit-def: $vgpr16
	s_and_saveexec_b32 s0, vcc_lo
	s_delay_alu instid0(SALU_CYCLE_1)
	s_xor_b32 s0, exec_lo, s0
; %bb.8:                                ;   in Loop: Header=BB25_3 Depth=1
	v_bfe_u32 v16, v5, 16, 1
	s_delay_alu instid0(VALU_DEP_1)
	v_add3_u32 v16, v5, v16, 0x7fff
                                        ; implicit-def: $vgpr5
; %bb.9:                                ;   in Loop: Header=BB25_3 Depth=1
	s_and_not1_saveexec_b32 s0, s0
; %bb.10:                               ;   in Loop: Header=BB25_3 Depth=1
	v_and_b32_e32 v16, 0xffff, v5
	v_or_b32_e32 v17, 0x10000, v5
	s_delay_alu instid0(VALU_DEP_2) | instskip(NEXT) | instid1(VALU_DEP_2)
	v_cmp_eq_u32_e32 vcc_lo, 0, v16
	v_cndmask_b32_e32 v16, v17, v5, vcc_lo
; %bb.11:                               ;   in Loop: Header=BB25_3 Depth=1
	s_or_b32 exec_lo, exec_lo, s0
	v_and_b32_e32 v5, 0xffff0000, v15
	s_waitcnt vmcnt(0)
	v_lshlrev_b32_e32 v15, 16, v1
	s_delay_alu instid0(VALU_DEP_1) | instskip(NEXT) | instid1(VALU_DEP_1)
	v_mul_f32_e32 v15, v15, v5
	v_and_b32_e32 v5, 0x7f800000, v15
	s_delay_alu instid0(VALU_DEP_1) | instskip(SKIP_1) | instid1(SALU_CYCLE_1)
	v_cmp_ne_u32_e32 vcc_lo, 0x7f800000, v5
                                        ; implicit-def: $vgpr5
	s_and_saveexec_b32 s0, vcc_lo
	s_xor_b32 s0, exec_lo, s0
; %bb.12:                               ;   in Loop: Header=BB25_3 Depth=1
	v_bfe_u32 v5, v15, 16, 1
	s_delay_alu instid0(VALU_DEP_1)
	v_add3_u32 v5, v15, v5, 0x7fff
                                        ; implicit-def: $vgpr15
; %bb.13:                               ;   in Loop: Header=BB25_3 Depth=1
	s_and_not1_saveexec_b32 s0, s0
; %bb.14:                               ;   in Loop: Header=BB25_3 Depth=1
	v_and_b32_e32 v5, 0xffff, v15
	v_or_b32_e32 v17, 0x10000, v15
	s_delay_alu instid0(VALU_DEP_2) | instskip(NEXT) | instid1(VALU_DEP_2)
	v_cmp_eq_u32_e32 vcc_lo, 0, v5
	v_cndmask_b32_e32 v5, v17, v15, vcc_lo
; %bb.15:                               ;   in Loop: Header=BB25_3 Depth=1
	s_or_b32 exec_lo, exec_lo, s0
	v_and_b32_e32 v15, 0xffff0000, v16
	v_and_b32_e32 v1, 0xffff0000, v1
	s_delay_alu instid0(VALU_DEP_1) | instskip(NEXT) | instid1(VALU_DEP_1)
	v_mul_f32_e32 v15, v1, v15
	v_and_b32_e32 v1, 0x7f800000, v15
	s_delay_alu instid0(VALU_DEP_1) | instskip(SKIP_1) | instid1(SALU_CYCLE_1)
	v_cmp_ne_u32_e32 vcc_lo, 0x7f800000, v1
                                        ; implicit-def: $vgpr1
	s_and_saveexec_b32 s0, vcc_lo
	s_xor_b32 s0, exec_lo, s0
; %bb.16:                               ;   in Loop: Header=BB25_3 Depth=1
	v_bfe_u32 v1, v15, 16, 1
	s_delay_alu instid0(VALU_DEP_1)
	v_add3_u32 v1, v15, v1, 0x7fff
                                        ; implicit-def: $vgpr15
; %bb.17:                               ;   in Loop: Header=BB25_3 Depth=1
	s_and_not1_saveexec_b32 s0, s0
; %bb.18:                               ;   in Loop: Header=BB25_3 Depth=1
	v_and_b32_e32 v1, 0xffff, v15
	v_or_b32_e32 v16, 0x10000, v15
	s_delay_alu instid0(VALU_DEP_2) | instskip(NEXT) | instid1(VALU_DEP_2)
	v_cmp_eq_u32_e32 vcc_lo, 0, v1
	v_cndmask_b32_e32 v1, v16, v15, vcc_lo
; %bb.19:                               ;   in Loop: Header=BB25_3 Depth=1
	s_or_b32 exec_lo, exec_lo, s0
	v_lshlrev_b32_e32 v15, 16, v6
	s_delay_alu instid0(VALU_DEP_1) | instskip(NEXT) | instid1(VALU_DEP_1)
	v_mul_f32_e32 v16, 0xbfb8aa3b, v15
	v_rndne_f32_e32 v17, v16
	v_fma_f32 v18, 0xbfb8aa3b, v15, -v16
	s_delay_alu instid0(VALU_DEP_2) | instskip(NEXT) | instid1(VALU_DEP_2)
	v_sub_f32_e32 v16, v16, v17
	v_fmac_f32_e32 v18, 0xb2a5705f, v15
	v_cvt_i32_f32_e32 v17, v17
	v_cmp_nlt_f32_e32 vcc_lo, 0x42ce8ed0, v15
	s_delay_alu instid0(VALU_DEP_3) | instskip(NEXT) | instid1(VALU_DEP_1)
	v_add_f32_e32 v16, v16, v18
	v_exp_f32_e32 v16, v16
	s_waitcnt_depctr 0xfff
	v_ldexp_f32 v16, v16, v17
	s_delay_alu instid0(VALU_DEP_1) | instskip(SKIP_1) | instid1(VALU_DEP_2)
	v_cndmask_b32_e32 v16, 0, v16, vcc_lo
	v_cmp_ngt_f32_e32 vcc_lo, 0xc2b17218, v15
	v_cndmask_b32_e32 v16, 0x7f800000, v16, vcc_lo
	s_delay_alu instid0(VALU_DEP_1) | instskip(NEXT) | instid1(VALU_DEP_1)
	v_add_f32_e32 v16, 1.0, v16
	v_div_scale_f32 v17, null, v16, v16, v15
	s_delay_alu instid0(VALU_DEP_1) | instskip(SKIP_2) | instid1(VALU_DEP_1)
	v_rcp_f32_e32 v18, v17
	s_waitcnt_depctr 0xfff
	v_fma_f32 v19, -v17, v18, 1.0
	v_fmac_f32_e32 v18, v19, v18
	v_div_scale_f32 v19, vcc_lo, v15, v16, v15
	s_delay_alu instid0(VALU_DEP_1) | instskip(NEXT) | instid1(VALU_DEP_1)
	v_mul_f32_e32 v20, v19, v18
	v_fma_f32 v21, -v17, v20, v19
	s_delay_alu instid0(VALU_DEP_1) | instskip(NEXT) | instid1(VALU_DEP_1)
	v_fmac_f32_e32 v20, v21, v18
	v_fma_f32 v17, -v17, v20, v19
	s_delay_alu instid0(VALU_DEP_1) | instskip(NEXT) | instid1(VALU_DEP_1)
	v_div_fmas_f32 v17, v17, v18, v20
	v_div_fixup_f32 v16, v17, v16, v15
	s_delay_alu instid0(VALU_DEP_1) | instskip(NEXT) | instid1(VALU_DEP_1)
	v_and_b32_e32 v15, 0x7f800000, v16
	v_cmp_ne_u32_e32 vcc_lo, 0x7f800000, v15
                                        ; implicit-def: $vgpr15
	s_and_saveexec_b32 s0, vcc_lo
	s_delay_alu instid0(SALU_CYCLE_1)
	s_xor_b32 s0, exec_lo, s0
; %bb.20:                               ;   in Loop: Header=BB25_3 Depth=1
	v_bfe_u32 v15, v16, 16, 1
	s_delay_alu instid0(VALU_DEP_1)
	v_add3_u32 v15, v16, v15, 0x7fff
                                        ; implicit-def: $vgpr16
; %bb.21:                               ;   in Loop: Header=BB25_3 Depth=1
	s_and_not1_saveexec_b32 s0, s0
; %bb.22:                               ;   in Loop: Header=BB25_3 Depth=1
	v_and_b32_e32 v15, 0xffff, v16
	v_or_b32_e32 v17, 0x10000, v16
	s_delay_alu instid0(VALU_DEP_2) | instskip(NEXT) | instid1(VALU_DEP_2)
	v_cmp_eq_u32_e32 vcc_lo, 0, v15
	v_cndmask_b32_e32 v15, v17, v16, vcc_lo
; %bb.23:                               ;   in Loop: Header=BB25_3 Depth=1
	s_or_b32 exec_lo, exec_lo, s0
	v_and_b32_e32 v6, 0xffff0000, v6
	s_delay_alu instid0(VALU_DEP_1) | instskip(SKIP_1) | instid1(VALU_DEP_2)
	v_mul_f32_e32 v16, 0xbfb8aa3b, v6
	v_cmp_nlt_f32_e32 vcc_lo, 0x42ce8ed0, v6
	v_fma_f32 v17, 0xbfb8aa3b, v6, -v16
	v_rndne_f32_e32 v18, v16
	s_delay_alu instid0(VALU_DEP_2) | instskip(NEXT) | instid1(VALU_DEP_2)
	v_fmac_f32_e32 v17, 0xb2a5705f, v6
	v_sub_f32_e32 v16, v16, v18
	s_delay_alu instid0(VALU_DEP_1) | instskip(SKIP_1) | instid1(VALU_DEP_2)
	v_add_f32_e32 v16, v16, v17
	v_cvt_i32_f32_e32 v17, v18
	v_exp_f32_e32 v16, v16
	s_waitcnt_depctr 0xfff
	v_ldexp_f32 v16, v16, v17
	s_delay_alu instid0(VALU_DEP_1) | instskip(SKIP_1) | instid1(VALU_DEP_2)
	v_cndmask_b32_e32 v16, 0, v16, vcc_lo
	v_cmp_ngt_f32_e32 vcc_lo, 0xc2b17218, v6
	v_cndmask_b32_e32 v16, 0x7f800000, v16, vcc_lo
	s_delay_alu instid0(VALU_DEP_1) | instskip(NEXT) | instid1(VALU_DEP_1)
	v_add_f32_e32 v16, 1.0, v16
	v_div_scale_f32 v17, null, v16, v16, v6
	s_delay_alu instid0(VALU_DEP_1) | instskip(SKIP_2) | instid1(VALU_DEP_1)
	v_rcp_f32_e32 v18, v17
	s_waitcnt_depctr 0xfff
	v_fma_f32 v19, -v17, v18, 1.0
	v_fmac_f32_e32 v18, v19, v18
	v_div_scale_f32 v19, vcc_lo, v6, v16, v6
	s_delay_alu instid0(VALU_DEP_1) | instskip(NEXT) | instid1(VALU_DEP_1)
	v_mul_f32_e32 v20, v19, v18
	v_fma_f32 v21, -v17, v20, v19
	s_delay_alu instid0(VALU_DEP_1) | instskip(NEXT) | instid1(VALU_DEP_1)
	v_fmac_f32_e32 v20, v21, v18
	v_fma_f32 v17, -v17, v20, v19
	s_delay_alu instid0(VALU_DEP_1) | instskip(NEXT) | instid1(VALU_DEP_1)
	v_div_fmas_f32 v17, v17, v18, v20
	v_div_fixup_f32 v6, v17, v16, v6
	s_delay_alu instid0(VALU_DEP_1) | instskip(NEXT) | instid1(VALU_DEP_1)
	v_and_b32_e32 v16, 0x7f800000, v6
	v_cmp_ne_u32_e32 vcc_lo, 0x7f800000, v16
                                        ; implicit-def: $vgpr16
	s_and_saveexec_b32 s0, vcc_lo
	s_delay_alu instid0(SALU_CYCLE_1)
	s_xor_b32 s0, exec_lo, s0
; %bb.24:                               ;   in Loop: Header=BB25_3 Depth=1
	v_bfe_u32 v16, v6, 16, 1
	s_delay_alu instid0(VALU_DEP_1)
	v_add3_u32 v16, v6, v16, 0x7fff
                                        ; implicit-def: $vgpr6
; %bb.25:                               ;   in Loop: Header=BB25_3 Depth=1
	s_and_not1_saveexec_b32 s0, s0
; %bb.26:                               ;   in Loop: Header=BB25_3 Depth=1
	v_and_b32_e32 v16, 0xffff, v6
	v_or_b32_e32 v17, 0x10000, v6
	s_delay_alu instid0(VALU_DEP_2) | instskip(NEXT) | instid1(VALU_DEP_2)
	v_cmp_eq_u32_e32 vcc_lo, 0, v16
	v_cndmask_b32_e32 v16, v17, v6, vcc_lo
; %bb.27:                               ;   in Loop: Header=BB25_3 Depth=1
	s_or_b32 exec_lo, exec_lo, s0
	v_and_b32_e32 v6, 0xffff0000, v15
	v_lshlrev_b32_e32 v15, 16, v2
	s_delay_alu instid0(VALU_DEP_1) | instskip(NEXT) | instid1(VALU_DEP_1)
	v_mul_f32_e32 v15, v15, v6
	v_and_b32_e32 v6, 0x7f800000, v15
	s_delay_alu instid0(VALU_DEP_1) | instskip(SKIP_1) | instid1(SALU_CYCLE_1)
	v_cmp_ne_u32_e32 vcc_lo, 0x7f800000, v6
                                        ; implicit-def: $vgpr6
	s_and_saveexec_b32 s0, vcc_lo
	s_xor_b32 s0, exec_lo, s0
; %bb.28:                               ;   in Loop: Header=BB25_3 Depth=1
	v_bfe_u32 v6, v15, 16, 1
	s_delay_alu instid0(VALU_DEP_1)
	v_add3_u32 v6, v15, v6, 0x7fff
                                        ; implicit-def: $vgpr15
; %bb.29:                               ;   in Loop: Header=BB25_3 Depth=1
	s_and_not1_saveexec_b32 s0, s0
; %bb.30:                               ;   in Loop: Header=BB25_3 Depth=1
	v_and_b32_e32 v6, 0xffff, v15
	v_or_b32_e32 v17, 0x10000, v15
	s_delay_alu instid0(VALU_DEP_2) | instskip(NEXT) | instid1(VALU_DEP_2)
	v_cmp_eq_u32_e32 vcc_lo, 0, v6
	v_cndmask_b32_e32 v6, v17, v15, vcc_lo
; %bb.31:                               ;   in Loop: Header=BB25_3 Depth=1
	s_or_b32 exec_lo, exec_lo, s0
	v_and_b32_e32 v15, 0xffff0000, v16
	v_and_b32_e32 v2, 0xffff0000, v2
	s_delay_alu instid0(VALU_DEP_1) | instskip(NEXT) | instid1(VALU_DEP_1)
	v_mul_f32_e32 v15, v2, v15
	v_and_b32_e32 v2, 0x7f800000, v15
	s_delay_alu instid0(VALU_DEP_1) | instskip(SKIP_1) | instid1(SALU_CYCLE_1)
	v_cmp_ne_u32_e32 vcc_lo, 0x7f800000, v2
                                        ; implicit-def: $vgpr2
	s_and_saveexec_b32 s0, vcc_lo
	s_xor_b32 s0, exec_lo, s0
; %bb.32:                               ;   in Loop: Header=BB25_3 Depth=1
	v_bfe_u32 v2, v15, 16, 1
	s_delay_alu instid0(VALU_DEP_1)
	v_add3_u32 v2, v15, v2, 0x7fff
                                        ; implicit-def: $vgpr15
; %bb.33:                               ;   in Loop: Header=BB25_3 Depth=1
	s_and_not1_saveexec_b32 s0, s0
; %bb.34:                               ;   in Loop: Header=BB25_3 Depth=1
	v_and_b32_e32 v2, 0xffff, v15
	v_or_b32_e32 v16, 0x10000, v15
	s_delay_alu instid0(VALU_DEP_2) | instskip(NEXT) | instid1(VALU_DEP_2)
	v_cmp_eq_u32_e32 vcc_lo, 0, v2
	v_cndmask_b32_e32 v2, v16, v15, vcc_lo
; %bb.35:                               ;   in Loop: Header=BB25_3 Depth=1
	s_or_b32 exec_lo, exec_lo, s0
	v_lshlrev_b32_e32 v15, 16, v7
	s_delay_alu instid0(VALU_DEP_1) | instskip(NEXT) | instid1(VALU_DEP_1)
	v_mul_f32_e32 v16, 0xbfb8aa3b, v15
	v_rndne_f32_e32 v17, v16
	v_fma_f32 v18, 0xbfb8aa3b, v15, -v16
	s_delay_alu instid0(VALU_DEP_2) | instskip(NEXT) | instid1(VALU_DEP_2)
	v_sub_f32_e32 v16, v16, v17
	v_fmac_f32_e32 v18, 0xb2a5705f, v15
	v_cvt_i32_f32_e32 v17, v17
	v_cmp_nlt_f32_e32 vcc_lo, 0x42ce8ed0, v15
	s_delay_alu instid0(VALU_DEP_3) | instskip(NEXT) | instid1(VALU_DEP_1)
	v_add_f32_e32 v16, v16, v18
	v_exp_f32_e32 v16, v16
	s_waitcnt_depctr 0xfff
	v_ldexp_f32 v16, v16, v17
	s_delay_alu instid0(VALU_DEP_1) | instskip(SKIP_1) | instid1(VALU_DEP_2)
	v_cndmask_b32_e32 v16, 0, v16, vcc_lo
	v_cmp_ngt_f32_e32 vcc_lo, 0xc2b17218, v15
	v_cndmask_b32_e32 v16, 0x7f800000, v16, vcc_lo
	s_delay_alu instid0(VALU_DEP_1) | instskip(NEXT) | instid1(VALU_DEP_1)
	v_add_f32_e32 v16, 1.0, v16
	v_div_scale_f32 v17, null, v16, v16, v15
	s_delay_alu instid0(VALU_DEP_1) | instskip(SKIP_2) | instid1(VALU_DEP_1)
	v_rcp_f32_e32 v18, v17
	s_waitcnt_depctr 0xfff
	v_fma_f32 v19, -v17, v18, 1.0
	v_fmac_f32_e32 v18, v19, v18
	v_div_scale_f32 v19, vcc_lo, v15, v16, v15
	s_delay_alu instid0(VALU_DEP_1) | instskip(NEXT) | instid1(VALU_DEP_1)
	v_mul_f32_e32 v20, v19, v18
	v_fma_f32 v21, -v17, v20, v19
	s_delay_alu instid0(VALU_DEP_1) | instskip(NEXT) | instid1(VALU_DEP_1)
	v_fmac_f32_e32 v20, v21, v18
	v_fma_f32 v17, -v17, v20, v19
	s_delay_alu instid0(VALU_DEP_1) | instskip(NEXT) | instid1(VALU_DEP_1)
	v_div_fmas_f32 v17, v17, v18, v20
	v_div_fixup_f32 v16, v17, v16, v15
	s_delay_alu instid0(VALU_DEP_1) | instskip(NEXT) | instid1(VALU_DEP_1)
	v_and_b32_e32 v15, 0x7f800000, v16
	v_cmp_ne_u32_e32 vcc_lo, 0x7f800000, v15
                                        ; implicit-def: $vgpr15
	s_and_saveexec_b32 s0, vcc_lo
	s_delay_alu instid0(SALU_CYCLE_1)
	s_xor_b32 s0, exec_lo, s0
; %bb.36:                               ;   in Loop: Header=BB25_3 Depth=1
	v_bfe_u32 v15, v16, 16, 1
	s_delay_alu instid0(VALU_DEP_1)
	v_add3_u32 v15, v16, v15, 0x7fff
                                        ; implicit-def: $vgpr16
; %bb.37:                               ;   in Loop: Header=BB25_3 Depth=1
	s_and_not1_saveexec_b32 s0, s0
; %bb.38:                               ;   in Loop: Header=BB25_3 Depth=1
	v_and_b32_e32 v15, 0xffff, v16
	v_or_b32_e32 v17, 0x10000, v16
	s_delay_alu instid0(VALU_DEP_2) | instskip(NEXT) | instid1(VALU_DEP_2)
	v_cmp_eq_u32_e32 vcc_lo, 0, v15
	v_cndmask_b32_e32 v15, v17, v16, vcc_lo
; %bb.39:                               ;   in Loop: Header=BB25_3 Depth=1
	s_or_b32 exec_lo, exec_lo, s0
	v_and_b32_e32 v7, 0xffff0000, v7
	s_delay_alu instid0(VALU_DEP_1) | instskip(NEXT) | instid1(VALU_DEP_1)
	v_mul_f32_e32 v16, 0xbfb8aa3b, v7
	v_fma_f32 v17, 0xbfb8aa3b, v7, -v16
	v_rndne_f32_e32 v18, v16
	s_delay_alu instid0(VALU_DEP_1) | instskip(SKIP_1) | instid1(VALU_DEP_4)
	v_sub_f32_e32 v16, v16, v18
	v_cmp_nlt_f32_e32 vcc_lo, 0x42ce8ed0, v7
	v_fmac_f32_e32 v17, 0xb2a5705f, v7
	s_delay_alu instid0(VALU_DEP_1) | instskip(SKIP_1) | instid1(VALU_DEP_2)
	v_add_f32_e32 v16, v16, v17
	v_cvt_i32_f32_e32 v17, v18
	v_exp_f32_e32 v16, v16
	s_waitcnt_depctr 0xfff
	v_ldexp_f32 v16, v16, v17
	s_delay_alu instid0(VALU_DEP_1) | instskip(SKIP_1) | instid1(VALU_DEP_2)
	v_cndmask_b32_e32 v16, 0, v16, vcc_lo
	v_cmp_ngt_f32_e32 vcc_lo, 0xc2b17218, v7
	v_cndmask_b32_e32 v16, 0x7f800000, v16, vcc_lo
	s_delay_alu instid0(VALU_DEP_1) | instskip(NEXT) | instid1(VALU_DEP_1)
	v_add_f32_e32 v16, 1.0, v16
	v_div_scale_f32 v17, null, v16, v16, v7
	s_delay_alu instid0(VALU_DEP_1) | instskip(SKIP_2) | instid1(VALU_DEP_1)
	v_rcp_f32_e32 v18, v17
	s_waitcnt_depctr 0xfff
	v_fma_f32 v19, -v17, v18, 1.0
	v_fmac_f32_e32 v18, v19, v18
	v_div_scale_f32 v19, vcc_lo, v7, v16, v7
	s_delay_alu instid0(VALU_DEP_1) | instskip(NEXT) | instid1(VALU_DEP_1)
	v_mul_f32_e32 v20, v19, v18
	v_fma_f32 v21, -v17, v20, v19
	s_delay_alu instid0(VALU_DEP_1) | instskip(NEXT) | instid1(VALU_DEP_1)
	v_fmac_f32_e32 v20, v21, v18
	v_fma_f32 v17, -v17, v20, v19
	s_delay_alu instid0(VALU_DEP_1) | instskip(NEXT) | instid1(VALU_DEP_1)
	v_div_fmas_f32 v17, v17, v18, v20
	v_div_fixup_f32 v7, v17, v16, v7
	s_delay_alu instid0(VALU_DEP_1) | instskip(NEXT) | instid1(VALU_DEP_1)
	v_and_b32_e32 v16, 0x7f800000, v7
	v_cmp_ne_u32_e32 vcc_lo, 0x7f800000, v16
                                        ; implicit-def: $vgpr16
	s_and_saveexec_b32 s0, vcc_lo
	s_delay_alu instid0(SALU_CYCLE_1)
	s_xor_b32 s0, exec_lo, s0
; %bb.40:                               ;   in Loop: Header=BB25_3 Depth=1
	v_bfe_u32 v16, v7, 16, 1
	s_delay_alu instid0(VALU_DEP_1)
	v_add3_u32 v16, v7, v16, 0x7fff
                                        ; implicit-def: $vgpr7
; %bb.41:                               ;   in Loop: Header=BB25_3 Depth=1
	s_and_not1_saveexec_b32 s0, s0
; %bb.42:                               ;   in Loop: Header=BB25_3 Depth=1
	v_and_b32_e32 v16, 0xffff, v7
	v_or_b32_e32 v17, 0x10000, v7
	s_delay_alu instid0(VALU_DEP_2) | instskip(NEXT) | instid1(VALU_DEP_2)
	v_cmp_eq_u32_e32 vcc_lo, 0, v16
	v_cndmask_b32_e32 v16, v17, v7, vcc_lo
; %bb.43:                               ;   in Loop: Header=BB25_3 Depth=1
	s_or_b32 exec_lo, exec_lo, s0
	v_and_b32_e32 v7, 0xffff0000, v15
	v_lshlrev_b32_e32 v15, 16, v3
	s_delay_alu instid0(VALU_DEP_1) | instskip(NEXT) | instid1(VALU_DEP_1)
	v_mul_f32_e32 v15, v15, v7
	v_and_b32_e32 v7, 0x7f800000, v15
	s_delay_alu instid0(VALU_DEP_1) | instskip(SKIP_1) | instid1(SALU_CYCLE_1)
	v_cmp_ne_u32_e32 vcc_lo, 0x7f800000, v7
                                        ; implicit-def: $vgpr7
	s_and_saveexec_b32 s0, vcc_lo
	s_xor_b32 s0, exec_lo, s0
; %bb.44:                               ;   in Loop: Header=BB25_3 Depth=1
	v_bfe_u32 v7, v15, 16, 1
	s_delay_alu instid0(VALU_DEP_1)
	v_add3_u32 v7, v15, v7, 0x7fff
                                        ; implicit-def: $vgpr15
; %bb.45:                               ;   in Loop: Header=BB25_3 Depth=1
	s_and_not1_saveexec_b32 s0, s0
; %bb.46:                               ;   in Loop: Header=BB25_3 Depth=1
	v_and_b32_e32 v7, 0xffff, v15
	v_or_b32_e32 v17, 0x10000, v15
	s_delay_alu instid0(VALU_DEP_2) | instskip(NEXT) | instid1(VALU_DEP_2)
	v_cmp_eq_u32_e32 vcc_lo, 0, v7
	v_cndmask_b32_e32 v7, v17, v15, vcc_lo
; %bb.47:                               ;   in Loop: Header=BB25_3 Depth=1
	s_or_b32 exec_lo, exec_lo, s0
	v_and_b32_e32 v15, 0xffff0000, v16
	v_and_b32_e32 v3, 0xffff0000, v3
	s_delay_alu instid0(VALU_DEP_1) | instskip(NEXT) | instid1(VALU_DEP_1)
	v_mul_f32_e32 v15, v3, v15
	v_and_b32_e32 v3, 0x7f800000, v15
	s_delay_alu instid0(VALU_DEP_1) | instskip(SKIP_1) | instid1(SALU_CYCLE_1)
	v_cmp_ne_u32_e32 vcc_lo, 0x7f800000, v3
                                        ; implicit-def: $vgpr3
	s_and_saveexec_b32 s0, vcc_lo
	s_xor_b32 s0, exec_lo, s0
; %bb.48:                               ;   in Loop: Header=BB25_3 Depth=1
	v_bfe_u32 v3, v15, 16, 1
	s_delay_alu instid0(VALU_DEP_1)
	v_add3_u32 v3, v15, v3, 0x7fff
                                        ; implicit-def: $vgpr15
; %bb.49:                               ;   in Loop: Header=BB25_3 Depth=1
	s_and_not1_saveexec_b32 s0, s0
; %bb.50:                               ;   in Loop: Header=BB25_3 Depth=1
	v_and_b32_e32 v3, 0xffff, v15
	v_or_b32_e32 v16, 0x10000, v15
	s_delay_alu instid0(VALU_DEP_2) | instskip(NEXT) | instid1(VALU_DEP_2)
	v_cmp_eq_u32_e32 vcc_lo, 0, v3
	v_cndmask_b32_e32 v3, v16, v15, vcc_lo
; %bb.51:                               ;   in Loop: Header=BB25_3 Depth=1
	s_or_b32 exec_lo, exec_lo, s0
	v_lshlrev_b32_e32 v15, 16, v8
	s_delay_alu instid0(VALU_DEP_1) | instskip(NEXT) | instid1(VALU_DEP_1)
	v_mul_f32_e32 v16, 0xbfb8aa3b, v15
	v_rndne_f32_e32 v17, v16
	v_fma_f32 v18, 0xbfb8aa3b, v15, -v16
	s_delay_alu instid0(VALU_DEP_2) | instskip(NEXT) | instid1(VALU_DEP_2)
	v_sub_f32_e32 v16, v16, v17
	v_fmac_f32_e32 v18, 0xb2a5705f, v15
	v_cvt_i32_f32_e32 v17, v17
	v_cmp_nlt_f32_e32 vcc_lo, 0x42ce8ed0, v15
	s_delay_alu instid0(VALU_DEP_3) | instskip(NEXT) | instid1(VALU_DEP_1)
	v_add_f32_e32 v16, v16, v18
	v_exp_f32_e32 v16, v16
	s_waitcnt_depctr 0xfff
	v_ldexp_f32 v16, v16, v17
	s_delay_alu instid0(VALU_DEP_1) | instskip(SKIP_1) | instid1(VALU_DEP_2)
	v_cndmask_b32_e32 v16, 0, v16, vcc_lo
	v_cmp_ngt_f32_e32 vcc_lo, 0xc2b17218, v15
	v_cndmask_b32_e32 v16, 0x7f800000, v16, vcc_lo
	s_delay_alu instid0(VALU_DEP_1) | instskip(NEXT) | instid1(VALU_DEP_1)
	v_add_f32_e32 v16, 1.0, v16
	v_div_scale_f32 v17, null, v16, v16, v15
	s_delay_alu instid0(VALU_DEP_1) | instskip(SKIP_2) | instid1(VALU_DEP_1)
	v_rcp_f32_e32 v18, v17
	s_waitcnt_depctr 0xfff
	v_fma_f32 v19, -v17, v18, 1.0
	v_fmac_f32_e32 v18, v19, v18
	v_div_scale_f32 v19, vcc_lo, v15, v16, v15
	s_delay_alu instid0(VALU_DEP_1) | instskip(NEXT) | instid1(VALU_DEP_1)
	v_mul_f32_e32 v20, v19, v18
	v_fma_f32 v21, -v17, v20, v19
	s_delay_alu instid0(VALU_DEP_1) | instskip(NEXT) | instid1(VALU_DEP_1)
	v_fmac_f32_e32 v20, v21, v18
	v_fma_f32 v17, -v17, v20, v19
	s_delay_alu instid0(VALU_DEP_1) | instskip(NEXT) | instid1(VALU_DEP_1)
	v_div_fmas_f32 v17, v17, v18, v20
	v_div_fixup_f32 v16, v17, v16, v15
	s_delay_alu instid0(VALU_DEP_1) | instskip(NEXT) | instid1(VALU_DEP_1)
	v_and_b32_e32 v15, 0x7f800000, v16
	v_cmp_ne_u32_e32 vcc_lo, 0x7f800000, v15
                                        ; implicit-def: $vgpr15
	s_and_saveexec_b32 s0, vcc_lo
	s_delay_alu instid0(SALU_CYCLE_1)
	s_xor_b32 s0, exec_lo, s0
; %bb.52:                               ;   in Loop: Header=BB25_3 Depth=1
	v_bfe_u32 v15, v16, 16, 1
	s_delay_alu instid0(VALU_DEP_1)
	v_add3_u32 v15, v16, v15, 0x7fff
                                        ; implicit-def: $vgpr16
; %bb.53:                               ;   in Loop: Header=BB25_3 Depth=1
	s_and_not1_saveexec_b32 s0, s0
; %bb.54:                               ;   in Loop: Header=BB25_3 Depth=1
	v_and_b32_e32 v15, 0xffff, v16
	v_or_b32_e32 v17, 0x10000, v16
	s_delay_alu instid0(VALU_DEP_2) | instskip(NEXT) | instid1(VALU_DEP_2)
	v_cmp_eq_u32_e32 vcc_lo, 0, v15
	v_cndmask_b32_e32 v15, v17, v16, vcc_lo
; %bb.55:                               ;   in Loop: Header=BB25_3 Depth=1
	s_or_b32 exec_lo, exec_lo, s0
	v_and_b32_e32 v8, 0xffff0000, v8
	s_delay_alu instid0(VALU_DEP_1) | instskip(SKIP_1) | instid1(VALU_DEP_2)
	v_mul_f32_e32 v16, 0xbfb8aa3b, v8
	v_cmp_nlt_f32_e32 vcc_lo, 0x42ce8ed0, v8
	v_fma_f32 v17, 0xbfb8aa3b, v8, -v16
	v_rndne_f32_e32 v18, v16
	s_delay_alu instid0(VALU_DEP_1) | instskip(NEXT) | instid1(VALU_DEP_1)
	v_dual_fmac_f32 v17, 0xb2a5705f, v8 :: v_dual_sub_f32 v16, v16, v18
	v_add_f32_e32 v16, v16, v17
	v_cvt_i32_f32_e32 v17, v18
	s_delay_alu instid0(VALU_DEP_2) | instskip(SKIP_2) | instid1(VALU_DEP_1)
	v_exp_f32_e32 v16, v16
	s_waitcnt_depctr 0xfff
	v_ldexp_f32 v16, v16, v17
	v_cndmask_b32_e32 v16, 0, v16, vcc_lo
	v_cmp_ngt_f32_e32 vcc_lo, 0xc2b17218, v8
	s_delay_alu instid0(VALU_DEP_2) | instskip(NEXT) | instid1(VALU_DEP_1)
	v_cndmask_b32_e32 v16, 0x7f800000, v16, vcc_lo
	v_add_f32_e32 v16, 1.0, v16
	s_delay_alu instid0(VALU_DEP_1) | instskip(NEXT) | instid1(VALU_DEP_1)
	v_div_scale_f32 v17, null, v16, v16, v8
	v_rcp_f32_e32 v18, v17
	s_waitcnt_depctr 0xfff
	v_fma_f32 v19, -v17, v18, 1.0
	s_delay_alu instid0(VALU_DEP_1) | instskip(SKIP_1) | instid1(VALU_DEP_1)
	v_fmac_f32_e32 v18, v19, v18
	v_div_scale_f32 v19, vcc_lo, v8, v16, v8
	v_mul_f32_e32 v20, v19, v18
	s_delay_alu instid0(VALU_DEP_1) | instskip(NEXT) | instid1(VALU_DEP_1)
	v_fma_f32 v21, -v17, v20, v19
	v_fmac_f32_e32 v20, v21, v18
	s_delay_alu instid0(VALU_DEP_1) | instskip(NEXT) | instid1(VALU_DEP_1)
	v_fma_f32 v17, -v17, v20, v19
	v_div_fmas_f32 v17, v17, v18, v20
	s_delay_alu instid0(VALU_DEP_1) | instskip(NEXT) | instid1(VALU_DEP_1)
	v_div_fixup_f32 v8, v17, v16, v8
	v_and_b32_e32 v16, 0x7f800000, v8
	s_delay_alu instid0(VALU_DEP_1) | instskip(SKIP_1) | instid1(SALU_CYCLE_1)
	v_cmp_ne_u32_e32 vcc_lo, 0x7f800000, v16
                                        ; implicit-def: $vgpr16
	s_and_saveexec_b32 s0, vcc_lo
	s_xor_b32 s0, exec_lo, s0
; %bb.56:                               ;   in Loop: Header=BB25_3 Depth=1
	v_bfe_u32 v16, v8, 16, 1
	s_delay_alu instid0(VALU_DEP_1)
	v_add3_u32 v16, v8, v16, 0x7fff
                                        ; implicit-def: $vgpr8
; %bb.57:                               ;   in Loop: Header=BB25_3 Depth=1
	s_and_not1_saveexec_b32 s0, s0
; %bb.58:                               ;   in Loop: Header=BB25_3 Depth=1
	v_and_b32_e32 v16, 0xffff, v8
	v_or_b32_e32 v17, 0x10000, v8
	s_delay_alu instid0(VALU_DEP_2) | instskip(NEXT) | instid1(VALU_DEP_2)
	v_cmp_eq_u32_e32 vcc_lo, 0, v16
	v_cndmask_b32_e32 v16, v17, v8, vcc_lo
; %bb.59:                               ;   in Loop: Header=BB25_3 Depth=1
	s_or_b32 exec_lo, exec_lo, s0
	v_and_b32_e32 v8, 0xffff0000, v15
	v_lshlrev_b32_e32 v15, 16, v4
	s_delay_alu instid0(VALU_DEP_1) | instskip(NEXT) | instid1(VALU_DEP_1)
	v_mul_f32_e32 v15, v15, v8
	v_and_b32_e32 v8, 0x7f800000, v15
	s_delay_alu instid0(VALU_DEP_1) | instskip(SKIP_1) | instid1(SALU_CYCLE_1)
	v_cmp_ne_u32_e32 vcc_lo, 0x7f800000, v8
                                        ; implicit-def: $vgpr8
	s_and_saveexec_b32 s0, vcc_lo
	s_xor_b32 s0, exec_lo, s0
; %bb.60:                               ;   in Loop: Header=BB25_3 Depth=1
	v_bfe_u32 v8, v15, 16, 1
	s_delay_alu instid0(VALU_DEP_1)
	v_add3_u32 v8, v15, v8, 0x7fff
                                        ; implicit-def: $vgpr15
; %bb.61:                               ;   in Loop: Header=BB25_3 Depth=1
	s_and_not1_saveexec_b32 s0, s0
; %bb.62:                               ;   in Loop: Header=BB25_3 Depth=1
	v_and_b32_e32 v8, 0xffff, v15
	v_or_b32_e32 v17, 0x10000, v15
	s_delay_alu instid0(VALU_DEP_2) | instskip(NEXT) | instid1(VALU_DEP_2)
	v_cmp_eq_u32_e32 vcc_lo, 0, v8
	v_cndmask_b32_e32 v8, v17, v15, vcc_lo
; %bb.63:                               ;   in Loop: Header=BB25_3 Depth=1
	s_or_b32 exec_lo, exec_lo, s0
	v_and_b32_e32 v15, 0xffff0000, v16
	v_and_b32_e32 v4, 0xffff0000, v4
	s_delay_alu instid0(VALU_DEP_1) | instskip(NEXT) | instid1(VALU_DEP_1)
	v_mul_f32_e32 v15, v4, v15
	v_and_b32_e32 v4, 0x7f800000, v15
	s_delay_alu instid0(VALU_DEP_1) | instskip(SKIP_1) | instid1(SALU_CYCLE_1)
	v_cmp_ne_u32_e32 vcc_lo, 0x7f800000, v4
                                        ; implicit-def: $vgpr4
	s_and_saveexec_b32 s0, vcc_lo
	s_xor_b32 s0, exec_lo, s0
; %bb.64:                               ;   in Loop: Header=BB25_3 Depth=1
	v_bfe_u32 v4, v15, 16, 1
	s_delay_alu instid0(VALU_DEP_1)
	v_add3_u32 v4, v15, v4, 0x7fff
                                        ; implicit-def: $vgpr15
; %bb.65:                               ;   in Loop: Header=BB25_3 Depth=1
	s_and_not1_saveexec_b32 s0, s0
	s_cbranch_execz .LBB25_2
; %bb.66:                               ;   in Loop: Header=BB25_3 Depth=1
	v_and_b32_e32 v4, 0xffff, v15
	v_or_b32_e32 v16, 0x10000, v15
	s_delay_alu instid0(VALU_DEP_2) | instskip(NEXT) | instid1(VALU_DEP_2)
	v_cmp_eq_u32_e32 vcc_lo, 0, v4
	v_cndmask_b32_e32 v4, v16, v15, vcc_lo
	s_branch .LBB25_2
.LBB25_67:
	s_nop 0
	s_sendmsg sendmsg(MSG_DEALLOC_VGPRS)
	s_endpgm
	.section	.rodata,"a",@progbits
	.p2align	6, 0x0
	.amdhsa_kernel _ZN4vllm18act_and_mul_kernelIN3c108BFloat16E15__hip_bfloat162TnPFT_RKS4_EXadL_ZNS_11silu_kernelIS2_EES4_S6_EETnPFT0_RKSA_EXadL_ZNS_18packed_silu_kernelIS3_EES4_S6_EELb0ELb1ELb0ELb0EEEvPS4_PS5_if
		.amdhsa_group_segment_fixed_size 0
		.amdhsa_private_segment_fixed_size 0
		.amdhsa_kernarg_size 280
		.amdhsa_user_sgpr_count 15
		.amdhsa_user_sgpr_dispatch_ptr 0
		.amdhsa_user_sgpr_queue_ptr 0
		.amdhsa_user_sgpr_kernarg_segment_ptr 1
		.amdhsa_user_sgpr_dispatch_id 0
		.amdhsa_user_sgpr_private_segment_size 0
		.amdhsa_wavefront_size32 1
		.amdhsa_uses_dynamic_stack 0
		.amdhsa_enable_private_segment 0
		.amdhsa_system_sgpr_workgroup_id_x 1
		.amdhsa_system_sgpr_workgroup_id_y 0
		.amdhsa_system_sgpr_workgroup_id_z 0
		.amdhsa_system_sgpr_workgroup_info 0
		.amdhsa_system_vgpr_workitem_id 0
		.amdhsa_next_free_vgpr 22
		.amdhsa_next_free_sgpr 16
		.amdhsa_reserve_vcc 1
		.amdhsa_float_round_mode_32 0
		.amdhsa_float_round_mode_16_64 0
		.amdhsa_float_denorm_mode_32 3
		.amdhsa_float_denorm_mode_16_64 3
		.amdhsa_dx10_clamp 1
		.amdhsa_ieee_mode 1
		.amdhsa_fp16_overflow 0
		.amdhsa_workgroup_processor_mode 1
		.amdhsa_memory_ordered 1
		.amdhsa_forward_progress 0
		.amdhsa_shared_vgpr_count 0
		.amdhsa_exception_fp_ieee_invalid_op 0
		.amdhsa_exception_fp_denorm_src 0
		.amdhsa_exception_fp_ieee_div_zero 0
		.amdhsa_exception_fp_ieee_overflow 0
		.amdhsa_exception_fp_ieee_underflow 0
		.amdhsa_exception_fp_ieee_inexact 0
		.amdhsa_exception_int_div_zero 0
	.end_amdhsa_kernel
	.section	.text._ZN4vllm18act_and_mul_kernelIN3c108BFloat16E15__hip_bfloat162TnPFT_RKS4_EXadL_ZNS_11silu_kernelIS2_EES4_S6_EETnPFT0_RKSA_EXadL_ZNS_18packed_silu_kernelIS3_EES4_S6_EELb0ELb1ELb0ELb0EEEvPS4_PS5_if,"axG",@progbits,_ZN4vllm18act_and_mul_kernelIN3c108BFloat16E15__hip_bfloat162TnPFT_RKS4_EXadL_ZNS_11silu_kernelIS2_EES4_S6_EETnPFT0_RKSA_EXadL_ZNS_18packed_silu_kernelIS3_EES4_S6_EELb0ELb1ELb0ELb0EEEvPS4_PS5_if,comdat
.Lfunc_end25:
	.size	_ZN4vllm18act_and_mul_kernelIN3c108BFloat16E15__hip_bfloat162TnPFT_RKS4_EXadL_ZNS_11silu_kernelIS2_EES4_S6_EETnPFT0_RKSA_EXadL_ZNS_18packed_silu_kernelIS3_EES4_S6_EELb0ELb1ELb0ELb0EEEvPS4_PS5_if, .Lfunc_end25-_ZN4vllm18act_and_mul_kernelIN3c108BFloat16E15__hip_bfloat162TnPFT_RKS4_EXadL_ZNS_11silu_kernelIS2_EES4_S6_EETnPFT0_RKSA_EXadL_ZNS_18packed_silu_kernelIS3_EES4_S6_EELb0ELb1ELb0ELb0EEEvPS4_PS5_if
                                        ; -- End function
	.section	.AMDGPU.csdata,"",@progbits
; Kernel info:
; codeLenInByte = 3652
; NumSgprs: 18
; NumVgprs: 22
; ScratchSize: 0
; MemoryBound: 0
; FloatMode: 240
; IeeeMode: 1
; LDSByteSize: 0 bytes/workgroup (compile time only)
; SGPRBlocks: 2
; VGPRBlocks: 2
; NumSGPRsForWavesPerEU: 18
; NumVGPRsForWavesPerEU: 22
; Occupancy: 16
; WaveLimiterHint : 0
; COMPUTE_PGM_RSRC2:SCRATCH_EN: 0
; COMPUTE_PGM_RSRC2:USER_SGPR: 15
; COMPUTE_PGM_RSRC2:TRAP_HANDLER: 0
; COMPUTE_PGM_RSRC2:TGID_X_EN: 1
; COMPUTE_PGM_RSRC2:TGID_Y_EN: 0
; COMPUTE_PGM_RSRC2:TGID_Z_EN: 0
; COMPUTE_PGM_RSRC2:TIDIG_COMP_CNT: 0
	.section	.text._ZN4vllm18act_and_mul_kernelIf15HIP_vector_typeIfLj2EETnPFT_RKS3_EXadL_ZNS_11silu_kernelIfEES3_S5_EETnPFT0_RKS9_EXadL_ZNS_18packed_silu_kernelIS2_EES3_S5_EELb0ELb0ELb0ELb0EEEvPS3_PS4_if,"axG",@progbits,_ZN4vllm18act_and_mul_kernelIf15HIP_vector_typeIfLj2EETnPFT_RKS3_EXadL_ZNS_11silu_kernelIfEES3_S5_EETnPFT0_RKS9_EXadL_ZNS_18packed_silu_kernelIS2_EES3_S5_EELb0ELb0ELb0ELb0EEEvPS3_PS4_if,comdat
	.protected	_ZN4vllm18act_and_mul_kernelIf15HIP_vector_typeIfLj2EETnPFT_RKS3_EXadL_ZNS_11silu_kernelIfEES3_S5_EETnPFT0_RKS9_EXadL_ZNS_18packed_silu_kernelIS2_EES3_S5_EELb0ELb0ELb0ELb0EEEvPS3_PS4_if ; -- Begin function _ZN4vllm18act_and_mul_kernelIf15HIP_vector_typeIfLj2EETnPFT_RKS3_EXadL_ZNS_11silu_kernelIfEES3_S5_EETnPFT0_RKS9_EXadL_ZNS_18packed_silu_kernelIS2_EES3_S5_EELb0ELb0ELb0ELb0EEEvPS3_PS4_if
	.globl	_ZN4vllm18act_and_mul_kernelIf15HIP_vector_typeIfLj2EETnPFT_RKS3_EXadL_ZNS_11silu_kernelIfEES3_S5_EETnPFT0_RKS9_EXadL_ZNS_18packed_silu_kernelIS2_EES3_S5_EELb0ELb0ELb0ELb0EEEvPS3_PS4_if
	.p2align	8
	.type	_ZN4vllm18act_and_mul_kernelIf15HIP_vector_typeIfLj2EETnPFT_RKS3_EXadL_ZNS_11silu_kernelIfEES3_S5_EETnPFT0_RKS9_EXadL_ZNS_18packed_silu_kernelIS2_EES3_S5_EELb0ELb0ELb0ELb0EEEvPS3_PS4_if,@function
_ZN4vllm18act_and_mul_kernelIf15HIP_vector_typeIfLj2EETnPFT_RKS3_EXadL_ZNS_11silu_kernelIfEES3_S5_EETnPFT0_RKS9_EXadL_ZNS_18packed_silu_kernelIS2_EES3_S5_EELb0ELb0ELb0ELb0EEEvPS3_PS4_if: ; @_ZN4vllm18act_and_mul_kernelIf15HIP_vector_typeIfLj2EETnPFT_RKS3_EXadL_ZNS_11silu_kernelIfEES3_S5_EETnPFT0_RKS9_EXadL_ZNS_18packed_silu_kernelIS2_EES3_S5_EELb0ELb0ELb0ELb0EEEvPS3_PS4_if
; %bb.0:
	s_load_b32 s2, s[0:1], 0x10
	s_mov_b32 s3, exec_lo
	s_waitcnt lgkmcnt(0)
	v_cmpx_gt_i32_e64 s2, v0
	s_cbranch_execz .LBB26_3
; %bb.1:
	s_clause 0x1
	s_load_b128 s[8:11], s[0:1], 0x0
	s_load_b32 s14, s[0:1], 0x24
	s_mul_i32 s12, s15, s2
	s_mov_b32 s1, 0
	s_lshl_b32 s0, s12, 1
	v_dual_mov_b32 v1, 0 :: v_dual_lshlrev_b32 v2, 2, v0
	s_lshl_b64 s[4:5], s[0:1], 2
	s_mov_b32 s13, s1
	s_delay_alu instid0(VALU_DEP_1) | instskip(SKIP_4) | instid1(SALU_CYCLE_1)
	v_mov_b32_e32 v3, v1
	s_waitcnt lgkmcnt(0)
	s_add_u32 s4, s10, s4
	s_addc_u32 s5, s11, s5
	s_ashr_i32 s3, s2, 31
	s_lshl_b64 s[6:7], s[2:3], 2
	s_delay_alu instid0(SALU_CYCLE_1) | instskip(SKIP_2) | instid1(SALU_CYCLE_1)
	s_add_u32 s6, s4, s6
	s_addc_u32 s7, s5, s7
	s_lshl_b64 s[10:11], s[12:13], 2
	s_add_u32 s8, s8, s10
	s_addc_u32 s9, s9, s11
	s_and_b32 s10, s14, 0xffff
	s_delay_alu instid0(SALU_CYCLE_1)
	s_lshl_b32 s11, s10, 2
.LBB26_2:                               ; =>This Inner Loop Header: Depth=1
	v_add_co_u32 v4, vcc_lo, s6, v2
	v_add_co_ci_u32_e32 v5, vcc_lo, s7, v3, vcc_lo
	v_add_co_u32 v6, vcc_lo, s4, v2
	v_add_co_ci_u32_e32 v7, vcc_lo, s5, v3, vcc_lo
	v_add_co_u32 v0, s0, v0, s10
	s_clause 0x1
	global_load_b32 v8, v[4:5], off
	global_load_b32 v6, v[6:7], off
	v_add_co_ci_u32_e64 v1, s0, 0, v1, s0
	s_waitcnt vmcnt(1)
	v_mul_f32_e32 v4, 0xbfb8aa3b, v8
	v_cmp_nlt_f32_e32 vcc_lo, 0x42ce8ed0, v8
	s_delay_alu instid0(VALU_DEP_2) | instskip(SKIP_1) | instid1(VALU_DEP_1)
	v_fma_f32 v5, 0xbfb8aa3b, v8, -v4
	v_rndne_f32_e32 v7, v4
	v_dual_fmac_f32 v5, 0xb2a5705f, v8 :: v_dual_sub_f32 v4, v4, v7
	s_delay_alu instid0(VALU_DEP_1) | instskip(SKIP_1) | instid1(VALU_DEP_2)
	v_add_f32_e32 v4, v4, v5
	v_cvt_i32_f32_e32 v5, v7
	v_exp_f32_e32 v4, v4
	s_waitcnt_depctr 0xfff
	v_ldexp_f32 v4, v4, v5
	s_delay_alu instid0(VALU_DEP_1) | instskip(SKIP_1) | instid1(VALU_DEP_2)
	v_cndmask_b32_e32 v4, 0, v4, vcc_lo
	v_cmp_ngt_f32_e32 vcc_lo, 0xc2b17218, v8
	v_cndmask_b32_e32 v4, 0x7f800000, v4, vcc_lo
	s_delay_alu instid0(VALU_DEP_1) | instskip(NEXT) | instid1(VALU_DEP_1)
	v_add_f32_e32 v7, 1.0, v4
	v_div_scale_f32 v4, null, v7, v7, v8
	v_div_scale_f32 v10, vcc_lo, v8, v7, v8
	s_delay_alu instid0(VALU_DEP_2) | instskip(SKIP_2) | instid1(VALU_DEP_1)
	v_rcp_f32_e32 v5, v4
	s_waitcnt_depctr 0xfff
	v_fma_f32 v9, -v4, v5, 1.0
	v_fmac_f32_e32 v5, v9, v5
	s_delay_alu instid0(VALU_DEP_1) | instskip(NEXT) | instid1(VALU_DEP_1)
	v_mul_f32_e32 v9, v10, v5
	v_fma_f32 v11, -v4, v9, v10
	s_delay_alu instid0(VALU_DEP_1) | instskip(NEXT) | instid1(VALU_DEP_1)
	v_fmac_f32_e32 v9, v11, v5
	v_fma_f32 v4, -v4, v9, v10
	s_delay_alu instid0(VALU_DEP_1) | instskip(SKIP_2) | instid1(VALU_DEP_3)
	v_div_fmas_f32 v9, v4, v5, v9
	v_add_co_u32 v4, vcc_lo, s8, v2
	v_add_co_ci_u32_e32 v5, vcc_lo, s9, v3, vcc_lo
	v_div_fixup_f32 v7, v9, v7, v8
	v_cmp_le_i64_e32 vcc_lo, s[2:3], v[0:1]
	v_add_co_u32 v2, s0, v2, s11
	s_delay_alu instid0(VALU_DEP_1)
	v_add_co_ci_u32_e64 v3, s0, 0, v3, s0
	s_waitcnt vmcnt(0)
	v_mul_f32_e32 v6, v6, v7
	s_or_b32 s1, vcc_lo, s1
	global_store_b32 v[4:5], v6, off
	s_and_not1_b32 exec_lo, exec_lo, s1
	s_cbranch_execnz .LBB26_2
.LBB26_3:
	s_nop 0
	s_sendmsg sendmsg(MSG_DEALLOC_VGPRS)
	s_endpgm
	.section	.rodata,"a",@progbits
	.p2align	6, 0x0
	.amdhsa_kernel _ZN4vllm18act_and_mul_kernelIf15HIP_vector_typeIfLj2EETnPFT_RKS3_EXadL_ZNS_11silu_kernelIfEES3_S5_EETnPFT0_RKS9_EXadL_ZNS_18packed_silu_kernelIS2_EES3_S5_EELb0ELb0ELb0ELb0EEEvPS3_PS4_if
		.amdhsa_group_segment_fixed_size 0
		.amdhsa_private_segment_fixed_size 0
		.amdhsa_kernarg_size 280
		.amdhsa_user_sgpr_count 15
		.amdhsa_user_sgpr_dispatch_ptr 0
		.amdhsa_user_sgpr_queue_ptr 0
		.amdhsa_user_sgpr_kernarg_segment_ptr 1
		.amdhsa_user_sgpr_dispatch_id 0
		.amdhsa_user_sgpr_private_segment_size 0
		.amdhsa_wavefront_size32 1
		.amdhsa_uses_dynamic_stack 0
		.amdhsa_enable_private_segment 0
		.amdhsa_system_sgpr_workgroup_id_x 1
		.amdhsa_system_sgpr_workgroup_id_y 0
		.amdhsa_system_sgpr_workgroup_id_z 0
		.amdhsa_system_sgpr_workgroup_info 0
		.amdhsa_system_vgpr_workitem_id 0
		.amdhsa_next_free_vgpr 12
		.amdhsa_next_free_sgpr 16
		.amdhsa_reserve_vcc 1
		.amdhsa_float_round_mode_32 0
		.amdhsa_float_round_mode_16_64 0
		.amdhsa_float_denorm_mode_32 3
		.amdhsa_float_denorm_mode_16_64 3
		.amdhsa_dx10_clamp 1
		.amdhsa_ieee_mode 1
		.amdhsa_fp16_overflow 0
		.amdhsa_workgroup_processor_mode 1
		.amdhsa_memory_ordered 1
		.amdhsa_forward_progress 0
		.amdhsa_shared_vgpr_count 0
		.amdhsa_exception_fp_ieee_invalid_op 0
		.amdhsa_exception_fp_denorm_src 0
		.amdhsa_exception_fp_ieee_div_zero 0
		.amdhsa_exception_fp_ieee_overflow 0
		.amdhsa_exception_fp_ieee_underflow 0
		.amdhsa_exception_fp_ieee_inexact 0
		.amdhsa_exception_int_div_zero 0
	.end_amdhsa_kernel
	.section	.text._ZN4vllm18act_and_mul_kernelIf15HIP_vector_typeIfLj2EETnPFT_RKS3_EXadL_ZNS_11silu_kernelIfEES3_S5_EETnPFT0_RKS9_EXadL_ZNS_18packed_silu_kernelIS2_EES3_S5_EELb0ELb0ELb0ELb0EEEvPS3_PS4_if,"axG",@progbits,_ZN4vllm18act_and_mul_kernelIf15HIP_vector_typeIfLj2EETnPFT_RKS3_EXadL_ZNS_11silu_kernelIfEES3_S5_EETnPFT0_RKS9_EXadL_ZNS_18packed_silu_kernelIS2_EES3_S5_EELb0ELb0ELb0ELb0EEEvPS3_PS4_if,comdat
.Lfunc_end26:
	.size	_ZN4vllm18act_and_mul_kernelIf15HIP_vector_typeIfLj2EETnPFT_RKS3_EXadL_ZNS_11silu_kernelIfEES3_S5_EETnPFT0_RKS9_EXadL_ZNS_18packed_silu_kernelIS2_EES3_S5_EELb0ELb0ELb0ELb0EEEvPS3_PS4_if, .Lfunc_end26-_ZN4vllm18act_and_mul_kernelIf15HIP_vector_typeIfLj2EETnPFT_RKS3_EXadL_ZNS_11silu_kernelIfEES3_S5_EETnPFT0_RKS9_EXadL_ZNS_18packed_silu_kernelIS2_EES3_S5_EELb0ELb0ELb0ELb0EEEvPS3_PS4_if
                                        ; -- End function
	.section	.AMDGPU.csdata,"",@progbits
; Kernel info:
; codeLenInByte = 484
; NumSgprs: 18
; NumVgprs: 12
; ScratchSize: 0
; MemoryBound: 0
; FloatMode: 240
; IeeeMode: 1
; LDSByteSize: 0 bytes/workgroup (compile time only)
; SGPRBlocks: 2
; VGPRBlocks: 1
; NumSGPRsForWavesPerEU: 18
; NumVGPRsForWavesPerEU: 12
; Occupancy: 16
; WaveLimiterHint : 0
; COMPUTE_PGM_RSRC2:SCRATCH_EN: 0
; COMPUTE_PGM_RSRC2:USER_SGPR: 15
; COMPUTE_PGM_RSRC2:TRAP_HANDLER: 0
; COMPUTE_PGM_RSRC2:TGID_X_EN: 1
; COMPUTE_PGM_RSRC2:TGID_Y_EN: 0
; COMPUTE_PGM_RSRC2:TGID_Z_EN: 0
; COMPUTE_PGM_RSRC2:TIDIG_COMP_CNT: 0
	.section	.text._ZN4vllm18act_and_mul_kernelIN3c104HalfE7__half2TnPFT_RKS4_EXadL_ZNS_11silu_kernelIS2_EES4_S6_EETnPFT0_RKSA_EXadL_ZNS_18packed_silu_kernelIS3_EES4_S6_EELb0ELb0ELb0ELb0EEEvPS4_PS5_if,"axG",@progbits,_ZN4vllm18act_and_mul_kernelIN3c104HalfE7__half2TnPFT_RKS4_EXadL_ZNS_11silu_kernelIS2_EES4_S6_EETnPFT0_RKSA_EXadL_ZNS_18packed_silu_kernelIS3_EES4_S6_EELb0ELb0ELb0ELb0EEEvPS4_PS5_if,comdat
	.protected	_ZN4vllm18act_and_mul_kernelIN3c104HalfE7__half2TnPFT_RKS4_EXadL_ZNS_11silu_kernelIS2_EES4_S6_EETnPFT0_RKSA_EXadL_ZNS_18packed_silu_kernelIS3_EES4_S6_EELb0ELb0ELb0ELb0EEEvPS4_PS5_if ; -- Begin function _ZN4vllm18act_and_mul_kernelIN3c104HalfE7__half2TnPFT_RKS4_EXadL_ZNS_11silu_kernelIS2_EES4_S6_EETnPFT0_RKSA_EXadL_ZNS_18packed_silu_kernelIS3_EES4_S6_EELb0ELb0ELb0ELb0EEEvPS4_PS5_if
	.globl	_ZN4vllm18act_and_mul_kernelIN3c104HalfE7__half2TnPFT_RKS4_EXadL_ZNS_11silu_kernelIS2_EES4_S6_EETnPFT0_RKSA_EXadL_ZNS_18packed_silu_kernelIS3_EES4_S6_EELb0ELb0ELb0ELb0EEEvPS4_PS5_if
	.p2align	8
	.type	_ZN4vllm18act_and_mul_kernelIN3c104HalfE7__half2TnPFT_RKS4_EXadL_ZNS_11silu_kernelIS2_EES4_S6_EETnPFT0_RKSA_EXadL_ZNS_18packed_silu_kernelIS3_EES4_S6_EELb0ELb0ELb0ELb0EEEvPS4_PS5_if,@function
_ZN4vllm18act_and_mul_kernelIN3c104HalfE7__half2TnPFT_RKS4_EXadL_ZNS_11silu_kernelIS2_EES4_S6_EETnPFT0_RKSA_EXadL_ZNS_18packed_silu_kernelIS3_EES4_S6_EELb0ELb0ELb0ELb0EEEvPS4_PS5_if: ; @_ZN4vllm18act_and_mul_kernelIN3c104HalfE7__half2TnPFT_RKS4_EXadL_ZNS_11silu_kernelIS2_EES4_S6_EETnPFT0_RKSA_EXadL_ZNS_18packed_silu_kernelIS3_EES4_S6_EELb0ELb0ELb0ELb0EEEvPS4_PS5_if
; %bb.0:
	s_load_b32 s8, s[0:1], 0x10
	s_mov_b32 s2, exec_lo
	s_waitcnt lgkmcnt(0)
	v_cmpx_gt_i32_e64 s8, v0
	s_cbranch_execz .LBB27_12
; %bb.1:
	s_load_b32 s2, s[0:1], 0x24
	s_ashr_i32 s9, s8, 31
	s_waitcnt lgkmcnt(0)
	s_and_b32 s14, s2, 0xffff
	s_delay_alu instid0(SALU_CYCLE_1) | instskip(NEXT) | instid1(VALU_DEP_1)
	v_add_co_u32 v1, s2, v0, s14
	v_add_co_ci_u32_e64 v2, null, 0, 0, s2
	s_delay_alu instid0(VALU_DEP_1) | instskip(SKIP_1) | instid1(VALU_DEP_2)
	v_cmp_gt_i64_e64 s2, s[8:9], v[1:2]
	v_cmp_lt_i64_e32 vcc_lo, s[8:9], v[1:2]
	v_cndmask_b32_e64 v6, 0, 1, s2
	v_cndmask_b32_e32 v3, s9, v2, vcc_lo
	v_cndmask_b32_e32 v4, s8, v1, vcc_lo
	s_mov_b32 s2, exec_lo
	s_delay_alu instid0(VALU_DEP_3) | instskip(SKIP_2) | instid1(VALU_DEP_3)
	v_add_co_u32 v5, vcc_lo, v1, v6
	v_mov_b32_e32 v1, 0
	v_add_co_ci_u32_e32 v2, vcc_lo, 0, v2, vcc_lo
	v_sub_co_u32 v7, vcc_lo, v4, v5
                                        ; implicit-def: $vgpr4_vgpr5
	s_delay_alu instid0(VALU_DEP_2) | instskip(NEXT) | instid1(VALU_DEP_4)
	v_sub_co_ci_u32_e32 v3, vcc_lo, v3, v2, vcc_lo
	v_mov_b32_e32 v2, v1
	s_delay_alu instid0(VALU_DEP_1)
	v_cmpx_ne_u64_e32 0, v[2:3]
	s_xor_b32 s3, exec_lo, s2
	s_cbranch_execz .LBB27_3
; %bb.2:
	v_cvt_f32_u32_e32 v2, s14
	s_sub_u32 s2, 0, s14
	s_subb_u32 s4, 0, 0
	s_delay_alu instid0(VALU_DEP_1) | instskip(NEXT) | instid1(VALU_DEP_1)
	v_fmamk_f32 v2, 0, 0x4f800000, v2
	v_rcp_f32_e32 v2, v2
	s_waitcnt_depctr 0xfff
	v_mul_f32_e32 v2, 0x5f7ffffc, v2
	s_delay_alu instid0(VALU_DEP_1) | instskip(NEXT) | instid1(VALU_DEP_1)
	v_mul_f32_e32 v4, 0x2f800000, v2
	v_trunc_f32_e32 v4, v4
	s_delay_alu instid0(VALU_DEP_1) | instskip(SKIP_1) | instid1(VALU_DEP_2)
	v_fmamk_f32 v2, v4, 0xcf800000, v2
	v_cvt_u32_f32_e32 v4, v4
	v_cvt_u32_f32_e32 v2, v2
	s_delay_alu instid0(VALU_DEP_2) | instskip(NEXT) | instid1(VALU_DEP_2)
	v_mul_lo_u32 v5, s2, v4
	v_mul_hi_u32 v8, s2, v2
	v_mul_lo_u32 v9, s4, v2
	s_delay_alu instid0(VALU_DEP_2) | instskip(SKIP_1) | instid1(VALU_DEP_2)
	v_add_nc_u32_e32 v5, v8, v5
	v_mul_lo_u32 v8, s2, v2
	v_add_nc_u32_e32 v5, v5, v9
	s_delay_alu instid0(VALU_DEP_2) | instskip(NEXT) | instid1(VALU_DEP_2)
	v_mul_hi_u32 v9, v2, v8
	v_mul_lo_u32 v10, v2, v5
	v_mul_hi_u32 v11, v2, v5
	v_mul_hi_u32 v12, v4, v8
	v_mul_lo_u32 v8, v4, v8
	v_mul_hi_u32 v13, v4, v5
	v_mul_lo_u32 v5, v4, v5
	v_add_co_u32 v9, vcc_lo, v9, v10
	v_add_co_ci_u32_e32 v10, vcc_lo, 0, v11, vcc_lo
	s_delay_alu instid0(VALU_DEP_2) | instskip(NEXT) | instid1(VALU_DEP_2)
	v_add_co_u32 v8, vcc_lo, v9, v8
	v_add_co_ci_u32_e32 v8, vcc_lo, v10, v12, vcc_lo
	v_add_co_ci_u32_e32 v9, vcc_lo, 0, v13, vcc_lo
	s_delay_alu instid0(VALU_DEP_2) | instskip(NEXT) | instid1(VALU_DEP_2)
	v_add_co_u32 v5, vcc_lo, v8, v5
	v_add_co_ci_u32_e32 v8, vcc_lo, 0, v9, vcc_lo
	s_delay_alu instid0(VALU_DEP_2) | instskip(NEXT) | instid1(VALU_DEP_2)
	v_add_co_u32 v2, vcc_lo, v2, v5
	v_add_co_ci_u32_e32 v4, vcc_lo, v4, v8, vcc_lo
	s_delay_alu instid0(VALU_DEP_2) | instskip(SKIP_1) | instid1(VALU_DEP_3)
	v_mul_hi_u32 v5, s2, v2
	v_mul_lo_u32 v9, s4, v2
	v_mul_lo_u32 v8, s2, v4
	s_delay_alu instid0(VALU_DEP_1) | instskip(SKIP_1) | instid1(VALU_DEP_2)
	v_add_nc_u32_e32 v5, v5, v8
	v_mul_lo_u32 v8, s2, v2
	v_add_nc_u32_e32 v5, v5, v9
	s_delay_alu instid0(VALU_DEP_2) | instskip(NEXT) | instid1(VALU_DEP_2)
	v_mul_hi_u32 v9, v2, v8
	v_mul_lo_u32 v10, v2, v5
	v_mul_hi_u32 v11, v2, v5
	v_mul_hi_u32 v12, v4, v8
	v_mul_lo_u32 v8, v4, v8
	v_mul_hi_u32 v13, v4, v5
	v_mul_lo_u32 v5, v4, v5
	v_add_co_u32 v9, vcc_lo, v9, v10
	v_add_co_ci_u32_e32 v10, vcc_lo, 0, v11, vcc_lo
	s_delay_alu instid0(VALU_DEP_2) | instskip(NEXT) | instid1(VALU_DEP_2)
	v_add_co_u32 v8, vcc_lo, v9, v8
	v_add_co_ci_u32_e32 v8, vcc_lo, v10, v12, vcc_lo
	v_add_co_ci_u32_e32 v9, vcc_lo, 0, v13, vcc_lo
	s_delay_alu instid0(VALU_DEP_2) | instskip(NEXT) | instid1(VALU_DEP_2)
	v_add_co_u32 v5, vcc_lo, v8, v5
	v_add_co_ci_u32_e32 v8, vcc_lo, 0, v9, vcc_lo
	s_delay_alu instid0(VALU_DEP_2) | instskip(NEXT) | instid1(VALU_DEP_2)
	v_add_co_u32 v2, vcc_lo, v2, v5
	v_add_co_ci_u32_e32 v12, vcc_lo, v4, v8, vcc_lo
	s_delay_alu instid0(VALU_DEP_2) | instskip(SKIP_1) | instid1(VALU_DEP_3)
	v_mul_hi_u32 v13, v7, v2
	v_mad_u64_u32 v[8:9], null, v3, v2, 0
	v_mad_u64_u32 v[4:5], null, v7, v12, 0
	v_mad_u64_u32 v[10:11], null, v3, v12, 0
	s_delay_alu instid0(VALU_DEP_2) | instskip(NEXT) | instid1(VALU_DEP_3)
	v_add_co_u32 v2, vcc_lo, v13, v4
	v_add_co_ci_u32_e32 v4, vcc_lo, 0, v5, vcc_lo
	s_delay_alu instid0(VALU_DEP_2) | instskip(NEXT) | instid1(VALU_DEP_2)
	v_add_co_u32 v2, vcc_lo, v2, v8
	v_add_co_ci_u32_e32 v2, vcc_lo, v4, v9, vcc_lo
	v_add_co_ci_u32_e32 v4, vcc_lo, 0, v11, vcc_lo
	s_delay_alu instid0(VALU_DEP_2) | instskip(NEXT) | instid1(VALU_DEP_2)
	v_add_co_u32 v10, vcc_lo, v2, v10
	v_add_co_ci_u32_e32 v11, vcc_lo, 0, v4, vcc_lo
	s_delay_alu instid0(VALU_DEP_2) | instskip(NEXT) | instid1(VALU_DEP_1)
	v_mad_u64_u32 v[4:5], null, s14, v10, 0
	v_mov_b32_e32 v2, v5
	s_delay_alu instid0(VALU_DEP_1) | instskip(NEXT) | instid1(VALU_DEP_3)
	v_mad_u64_u32 v[8:9], null, s14, v11, v[2:3]
	v_sub_co_u32 v2, vcc_lo, v7, v4
	s_delay_alu instid0(VALU_DEP_2) | instskip(NEXT) | instid1(VALU_DEP_2)
	v_sub_co_ci_u32_e32 v3, vcc_lo, v3, v8, vcc_lo
	v_sub_co_u32 v4, vcc_lo, v2, s14
	s_delay_alu instid0(VALU_DEP_2) | instskip(NEXT) | instid1(VALU_DEP_2)
	v_subrev_co_ci_u32_e32 v5, vcc_lo, 0, v3, vcc_lo
	v_cmp_le_u32_e32 vcc_lo, s14, v4
	v_cmp_eq_u32_e64 s2, 0, v3
	v_cndmask_b32_e64 v4, 0, -1, vcc_lo
	v_add_co_u32 v7, vcc_lo, v10, 2
	v_add_co_ci_u32_e32 v8, vcc_lo, 0, v11, vcc_lo
	v_cmp_le_u32_e32 vcc_lo, s14, v2
	v_cndmask_b32_e64 v2, 0, -1, vcc_lo
	v_cmp_eq_u32_e32 vcc_lo, 0, v5
	s_delay_alu instid0(VALU_DEP_2) | instskip(SKIP_3) | instid1(VALU_DEP_3)
	v_cndmask_b32_e64 v2, -1, v2, s2
	v_cndmask_b32_e32 v4, -1, v4, vcc_lo
	v_add_co_u32 v5, vcc_lo, v10, 1
	v_add_co_ci_u32_e32 v9, vcc_lo, 0, v11, vcc_lo
	v_cmp_ne_u32_e32 vcc_lo, 0, v4
	s_delay_alu instid0(VALU_DEP_2) | instskip(NEXT) | instid1(VALU_DEP_4)
	v_cndmask_b32_e32 v3, v9, v8, vcc_lo
	v_cndmask_b32_e32 v4, v5, v7, vcc_lo
	v_cmp_ne_u32_e32 vcc_lo, 0, v2
                                        ; implicit-def: $vgpr7
	s_delay_alu instid0(VALU_DEP_2)
	v_dual_cndmask_b32 v5, v11, v3 :: v_dual_cndmask_b32 v4, v10, v4
.LBB27_3:
	s_or_saveexec_b32 s2, s3
	s_load_b128 s[4:7], s[0:1], 0x0
	s_xor_b32 exec_lo, exec_lo, s2
	s_cbranch_execz .LBB27_5
; %bb.4:
	v_cvt_f32_u32_e32 v2, s14
	s_sub_i32 s0, 0, s14
	s_delay_alu instid0(VALU_DEP_1) | instskip(SKIP_2) | instid1(VALU_DEP_1)
	v_rcp_iflag_f32_e32 v2, v2
	s_waitcnt_depctr 0xfff
	v_mul_f32_e32 v2, 0x4f7ffffe, v2
	v_cvt_u32_f32_e32 v2, v2
	s_delay_alu instid0(VALU_DEP_1) | instskip(NEXT) | instid1(VALU_DEP_1)
	v_mul_lo_u32 v3, s0, v2
	v_mul_hi_u32 v3, v2, v3
	s_delay_alu instid0(VALU_DEP_1) | instskip(NEXT) | instid1(VALU_DEP_1)
	v_add_nc_u32_e32 v2, v2, v3
	v_mul_hi_u32 v2, v7, v2
	s_delay_alu instid0(VALU_DEP_1) | instskip(SKIP_1) | instid1(VALU_DEP_2)
	v_mul_lo_u32 v3, v2, s14
	v_add_nc_u32_e32 v4, 1, v2
	v_sub_nc_u32_e32 v3, v7, v3
	s_delay_alu instid0(VALU_DEP_1) | instskip(SKIP_1) | instid1(VALU_DEP_2)
	v_subrev_nc_u32_e32 v5, s14, v3
	v_cmp_le_u32_e32 vcc_lo, s14, v3
	v_cndmask_b32_e32 v3, v3, v5, vcc_lo
	v_dual_mov_b32 v5, 0 :: v_dual_cndmask_b32 v2, v2, v4
	s_delay_alu instid0(VALU_DEP_2) | instskip(NEXT) | instid1(VALU_DEP_2)
	v_cmp_le_u32_e32 vcc_lo, s14, v3
	v_add_nc_u32_e32 v4, 1, v2
	s_delay_alu instid0(VALU_DEP_1)
	v_cndmask_b32_e32 v4, v2, v4, vcc_lo
.LBB27_5:
	s_or_b32 exec_lo, exec_lo, s2
	s_delay_alu instid0(VALU_DEP_1) | instskip(SKIP_2) | instid1(VALU_DEP_3)
	v_add_co_u32 v2, vcc_lo, v4, v6
	v_add_co_ci_u32_e32 v3, vcc_lo, 0, v5, vcc_lo
	v_cmp_eq_u16_e64 s0, s14, 1
	v_add_co_u32 v2, vcc_lo, v2, 1
	s_delay_alu instid0(VALU_DEP_3) | instskip(SKIP_3) | instid1(VALU_DEP_1)
	v_add_co_ci_u32_e32 v3, vcc_lo, 0, v3, vcc_lo
	s_mul_i32 s2, s15, s8
	s_mov_b32 s11, 0
	s_lshl_b32 s10, s2, 1
	v_cmp_lt_u64_e32 vcc_lo, 1, v[2:3]
	s_mov_b32 s3, s11
	s_and_b32 s12, vcc_lo, s0
	s_mov_b32 s0, -1
	s_and_saveexec_b32 s1, s12
	s_cbranch_execz .LBB27_9
; %bb.6:
	v_lshlrev_b32_e32 v6, 1, v0
	s_lshl_b64 s[12:13], s[10:11], 1
	v_dual_mov_b32 v5, v3 :: v_dual_and_b32 v4, -2, v2
	s_waitcnt lgkmcnt(0)
	s_add_u32 s0, s6, s12
	s_addc_u32 s12, s7, s13
	v_add_co_u32 v8, s0, s0, v6
	s_lshl_b64 s[16:17], s[2:3], 1
	v_add_co_ci_u32_e64 v9, null, s12, 0, s0
	s_lshl_b32 s15, s14, 2
	s_lshl_b64 s[12:13], s[8:9], 1
	s_add_u32 s0, s4, s16
	v_add_co_u32 v10, vcc_lo, v8, s12
	s_addc_u32 s12, s5, s17
	v_add_co_u32 v12, s0, s0, v6
	v_add_co_ci_u32_e32 v11, vcc_lo, s13, v9, vcc_lo
	v_add_co_ci_u32_e64 v13, null, s12, 0, s0
	v_dual_mov_b32 v7, v5 :: v_dual_mov_b32 v6, v4
	s_mov_b64 s[12:13], 0
	s_mov_b32 s16, 0x3fb8aa3b
	s_mov_b32 s18, 0x32a5705f
	;; [unrolled: 1-line block ×3, first 2 shown]
.LBB27_7:                               ; =>This Inner Loop Header: Depth=1
	v_add_co_u32 v14, vcc_lo, v10, s12
	v_add_co_ci_u32_e32 v15, vcc_lo, s13, v11, vcc_lo
	v_add_co_u32 v16, vcc_lo, v8, s12
	v_add_co_ci_u32_e32 v17, vcc_lo, s13, v9, vcc_lo
	s_clause 0x1
	global_load_b32 v14, v[14:15], off
	global_load_b32 v16, v[16:17], off
	s_waitcnt vmcnt(1)
	v_lshrrev_b32_e32 v15, 16, v14
	v_cvt_f32_f16_e64 v17, -v14
	v_cvt_f32_f16_e32 v18, v14
	s_delay_alu instid0(VALU_DEP_3) | instskip(NEXT) | instid1(VALU_DEP_3)
	v_cvt_f32_f16_e64 v19, -v15
	v_mul_f32_e32 v20, 0x3fb8aa3b, v17
	v_cmp_ngt_f32_e32 vcc_lo, 0xc2ce8ed0, v17
	v_cvt_f32_f16_e32 v15, v15
	s_delay_alu instid0(VALU_DEP_4) | instskip(NEXT) | instid1(VALU_DEP_4)
	v_mul_f32_e32 v21, 0x3fb8aa3b, v19
	v_fma_mix_f32 v22, -v14, s16, -v20 op_sel_hi:[1,0,0]
	v_rndne_f32_e32 v23, v20
	v_cmp_ngt_f32_e64 s0, 0xc2ce8ed0, v19
	s_delay_alu instid0(VALU_DEP_4) | instskip(NEXT) | instid1(VALU_DEP_4)
	v_rndne_f32_e32 v25, v21
	v_fma_mix_f32 v22, -v14, s18, v22 op_sel_hi:[1,0,0]
	s_delay_alu instid0(VALU_DEP_4) | instskip(SKIP_2) | instid1(VALU_DEP_3)
	v_sub_f32_e32 v20, v20, v23
	v_fma_mix_f32 v24, -v14, s16, -v21 op_sel:[1,0,0] op_sel_hi:[1,0,0]
	v_cvt_i32_f32_e32 v23, v23
	v_dual_sub_f32 v21, v21, v25 :: v_dual_add_f32 v20, v20, v22
	s_delay_alu instid0(VALU_DEP_3) | instskip(SKIP_1) | instid1(VALU_DEP_3)
	v_fma_mix_f32 v14, -v14, s18, v24 op_sel:[1,0,0] op_sel_hi:[1,0,0]
	v_cvt_i32_f32_e32 v22, v25
	v_exp_f32_e32 v20, v20
	s_waitcnt_depctr 0xfff
	v_ldexp_f32 v20, v20, v23
	s_delay_alu instid0(VALU_DEP_1) | instskip(SKIP_1) | instid1(VALU_DEP_2)
	v_cndmask_b32_e32 v20, 0, v20, vcc_lo
	v_cmp_nlt_f32_e32 vcc_lo, 0x42b17218, v17
	v_dual_add_f32 v14, v21, v14 :: v_dual_cndmask_b32 v17, 0x7f800000, v20
	v_cmp_nlt_f32_e32 vcc_lo, 0x42b17218, v19
	s_delay_alu instid0(VALU_DEP_2) | instskip(NEXT) | instid1(VALU_DEP_2)
	v_exp_f32_e32 v14, v14
	v_add_f32_e32 v17, 1.0, v17
	s_delay_alu instid0(VALU_DEP_1) | instskip(SKIP_3) | instid1(VALU_DEP_1)
	v_div_scale_f32 v19, null, v17, v17, v18
	s_waitcnt_depctr 0xfff
	v_ldexp_f32 v14, v14, v22
	v_rcp_f32_e32 v23, v19
	v_cndmask_b32_e64 v14, 0, v14, s0
	v_div_scale_f32 v20, s0, v18, v17, v18
	s_waitcnt_depctr 0xfff
	v_fma_f32 v25, -v19, v23, 1.0
	s_delay_alu instid0(VALU_DEP_1) | instskip(NEXT) | instid1(VALU_DEP_1)
	v_dual_fmac_f32 v23, v25, v23 :: v_dual_cndmask_b32 v14, 0x7f800000, v14
	v_mul_f32_e32 v25, v20, v23
	s_delay_alu instid0(VALU_DEP_1) | instskip(NEXT) | instid1(VALU_DEP_1)
	v_fma_f32 v27, -v19, v25, v20
	v_dual_add_f32 v14, 1.0, v14 :: v_dual_fmac_f32 v25, v27, v23
	s_delay_alu instid0(VALU_DEP_1) | instskip(SKIP_1) | instid1(VALU_DEP_3)
	v_div_scale_f32 v21, null, v14, v14, v15
	v_div_scale_f32 v24, vcc_lo, v15, v14, v15
	v_fma_f32 v19, -v19, v25, v20
	s_delay_alu instid0(VALU_DEP_3) | instskip(SKIP_2) | instid1(VALU_DEP_1)
	v_rcp_f32_e32 v22, v21
	s_waitcnt_depctr 0xfff
	v_fma_f32 v26, -v21, v22, 1.0
	v_fmac_f32_e32 v22, v26, v22
	s_delay_alu instid0(VALU_DEP_1) | instskip(NEXT) | instid1(VALU_DEP_1)
	v_mul_f32_e32 v26, v24, v22
	v_fma_f32 v28, -v21, v26, v24
	s_delay_alu instid0(VALU_DEP_1) | instskip(NEXT) | instid1(VALU_DEP_1)
	v_fmac_f32_e32 v26, v28, v22
	v_fma_f32 v20, -v21, v26, v24
	s_delay_alu instid0(VALU_DEP_1) | instskip(SKIP_3) | instid1(VALU_DEP_3)
	v_div_fmas_f32 v20, v20, v22, v26
	s_mov_b32 vcc_lo, s0
	v_div_fmas_f32 v19, v19, v23, v25
	v_add_co_u32 v6, vcc_lo, v6, -2
	v_div_fixup_f32 v14, v20, v14, v15
	v_add_co_ci_u32_e32 v7, vcc_lo, -1, v7, vcc_lo
	s_delay_alu instid0(VALU_DEP_4) | instskip(NEXT) | instid1(VALU_DEP_3)
	v_div_fixup_f32 v15, v19, v17, v18
	v_cvt_f16_f32_e32 v14, v14
	s_delay_alu instid0(VALU_DEP_3) | instskip(NEXT) | instid1(VALU_DEP_3)
	v_cmp_eq_u64_e64 s0, 0, v[6:7]
	v_cvt_f16_f32_e32 v15, v15
	s_delay_alu instid0(VALU_DEP_1) | instskip(SKIP_3) | instid1(VALU_DEP_3)
	v_pack_b32_f16 v17, v15, v14
	v_add_co_u32 v14, vcc_lo, v12, s12
	v_add_co_ci_u32_e32 v15, vcc_lo, s13, v13, vcc_lo
	s_waitcnt vmcnt(0)
	v_pk_mul_f16 v16, v16, v17
	s_add_u32 s12, s12, s15
	s_addc_u32 s13, s13, 0
	s_or_b32 s17, s0, s17
	global_store_b32 v[14:15], v16, off
	s_and_not1_b32 exec_lo, exec_lo, s17
	s_cbranch_execnz .LBB27_7
; %bb.8:
	s_or_b32 exec_lo, exec_lo, s17
	v_mad_u64_u32 v[6:7], null, v4, s14, v[0:1]
	v_cmp_ne_u64_e32 vcc_lo, v[2:3], v[4:5]
	s_or_not1_b32 s0, vcc_lo, exec_lo
	s_delay_alu instid0(VALU_DEP_2) | instskip(NEXT) | instid1(VALU_DEP_1)
	v_mov_b32_e32 v0, v7
	v_mad_u64_u32 v[7:8], null, v5, s14, v[0:1]
	s_delay_alu instid0(VALU_DEP_1)
	v_dual_mov_b32 v0, v6 :: v_dual_mov_b32 v1, v7
.LBB27_9:
	s_or_b32 exec_lo, exec_lo, s1
	s_delay_alu instid0(SALU_CYCLE_1)
	s_and_b32 exec_lo, exec_lo, s0
	s_cbranch_execz .LBB27_12
; %bb.10:
	s_lshl_b64 s[10:11], s[10:11], 1
	v_lshlrev_b64 v[2:3], 1, v[0:1]
	s_waitcnt lgkmcnt(0)
	s_add_u32 s1, s6, s10
	s_addc_u32 s6, s7, s11
	s_lshl_b64 s[10:11], s[8:9], 1
	s_mov_b32 s12, 0x32a5705f
	s_add_u32 s7, s1, s10
	s_addc_u32 s10, s6, s11
	s_lshl_b64 s[2:3], s[2:3], 1
	s_mov_b32 s11, 0x3fb8aa3b
	s_add_u32 s2, s4, s2
	s_addc_u32 s3, s5, s3
	s_lshl_b32 s4, s14, 1
	s_mov_b32 s5, 0
.LBB27_11:                              ; =>This Inner Loop Header: Depth=1
	v_add_co_u32 v4, vcc_lo, s7, v2
	v_add_co_ci_u32_e32 v5, vcc_lo, s10, v3, vcc_lo
	v_add_co_u32 v6, vcc_lo, s1, v2
	v_add_co_ci_u32_e32 v7, vcc_lo, s6, v3, vcc_lo
	s_clause 0x1
	global_load_u16 v4, v[4:5], off
	global_load_u16 v6, v[6:7], off
	s_waitcnt vmcnt(1)
	v_cvt_f32_f16_e64 v5, -v4
	s_delay_alu instid0(VALU_DEP_1) | instskip(SKIP_1) | instid1(VALU_DEP_2)
	v_mul_f32_e32 v7, 0x3fb8aa3b, v5
	v_cmp_ngt_f32_e32 vcc_lo, 0xc2ce8ed0, v5
	v_fma_mix_f32 v8, -v4, s11, -v7 op_sel_hi:[1,0,0]
	v_rndne_f32_e32 v9, v7
	s_delay_alu instid0(VALU_DEP_2) | instskip(NEXT) | instid1(VALU_DEP_2)
	v_fma_mix_f32 v8, -v4, s12, v8 op_sel_hi:[1,0,0]
	v_sub_f32_e32 v7, v7, v9
	v_cvt_f32_f16_e32 v4, v4
	s_delay_alu instid0(VALU_DEP_2) | instskip(SKIP_1) | instid1(VALU_DEP_2)
	v_add_f32_e32 v7, v7, v8
	v_cvt_i32_f32_e32 v8, v9
	v_exp_f32_e32 v7, v7
	s_waitcnt_depctr 0xfff
	v_ldexp_f32 v7, v7, v8
	s_delay_alu instid0(VALU_DEP_1) | instskip(SKIP_1) | instid1(VALU_DEP_2)
	v_cndmask_b32_e32 v7, 0, v7, vcc_lo
	v_cmp_nlt_f32_e32 vcc_lo, 0x42b17218, v5
	v_cndmask_b32_e32 v5, 0x7f800000, v7, vcc_lo
	s_delay_alu instid0(VALU_DEP_1) | instskip(NEXT) | instid1(VALU_DEP_1)
	v_add_f32_e32 v5, 1.0, v5
	v_div_scale_f32 v7, null, v5, v5, v4
	v_div_scale_f32 v10, vcc_lo, v4, v5, v4
	s_delay_alu instid0(VALU_DEP_2) | instskip(SKIP_2) | instid1(VALU_DEP_1)
	v_rcp_f32_e32 v8, v7
	s_waitcnt_depctr 0xfff
	v_fma_f32 v9, -v7, v8, 1.0
	v_fmac_f32_e32 v8, v9, v8
	s_delay_alu instid0(VALU_DEP_1) | instskip(NEXT) | instid1(VALU_DEP_1)
	v_mul_f32_e32 v9, v10, v8
	v_fma_f32 v11, -v7, v9, v10
	s_delay_alu instid0(VALU_DEP_1) | instskip(NEXT) | instid1(VALU_DEP_1)
	v_fmac_f32_e32 v9, v11, v8
	v_fma_f32 v7, -v7, v9, v10
	s_delay_alu instid0(VALU_DEP_1) | instskip(SKIP_2) | instid1(VALU_DEP_3)
	v_div_fmas_f32 v7, v7, v8, v9
	v_add_co_u32 v0, vcc_lo, v0, s14
	v_add_co_ci_u32_e32 v1, vcc_lo, 0, v1, vcc_lo
	v_div_fixup_f32 v7, v7, v5, v4
	v_add_co_u32 v4, vcc_lo, s2, v2
	v_add_co_ci_u32_e32 v5, vcc_lo, s3, v3, vcc_lo
	s_delay_alu instid0(VALU_DEP_3) | instskip(SKIP_2) | instid1(VALU_DEP_1)
	v_cvt_f16_f32_e32 v7, v7
	v_cmp_le_i64_e32 vcc_lo, s[8:9], v[0:1]
	v_add_co_u32 v2, s0, v2, s4
	v_add_co_ci_u32_e64 v3, s0, 0, v3, s0
	s_waitcnt vmcnt(0)
	v_mul_f16_e32 v6, v6, v7
	s_or_b32 s5, vcc_lo, s5
	global_store_b16 v[4:5], v6, off
	s_and_not1_b32 exec_lo, exec_lo, s5
	s_cbranch_execnz .LBB27_11
.LBB27_12:
	s_nop 0
	s_sendmsg sendmsg(MSG_DEALLOC_VGPRS)
	s_endpgm
	.section	.rodata,"a",@progbits
	.p2align	6, 0x0
	.amdhsa_kernel _ZN4vllm18act_and_mul_kernelIN3c104HalfE7__half2TnPFT_RKS4_EXadL_ZNS_11silu_kernelIS2_EES4_S6_EETnPFT0_RKSA_EXadL_ZNS_18packed_silu_kernelIS3_EES4_S6_EELb0ELb0ELb0ELb0EEEvPS4_PS5_if
		.amdhsa_group_segment_fixed_size 0
		.amdhsa_private_segment_fixed_size 0
		.amdhsa_kernarg_size 280
		.amdhsa_user_sgpr_count 15
		.amdhsa_user_sgpr_dispatch_ptr 0
		.amdhsa_user_sgpr_queue_ptr 0
		.amdhsa_user_sgpr_kernarg_segment_ptr 1
		.amdhsa_user_sgpr_dispatch_id 0
		.amdhsa_user_sgpr_private_segment_size 0
		.amdhsa_wavefront_size32 1
		.amdhsa_uses_dynamic_stack 0
		.amdhsa_enable_private_segment 0
		.amdhsa_system_sgpr_workgroup_id_x 1
		.amdhsa_system_sgpr_workgroup_id_y 0
		.amdhsa_system_sgpr_workgroup_id_z 0
		.amdhsa_system_sgpr_workgroup_info 0
		.amdhsa_system_vgpr_workitem_id 0
		.amdhsa_next_free_vgpr 29
		.amdhsa_next_free_sgpr 19
		.amdhsa_reserve_vcc 1
		.amdhsa_float_round_mode_32 0
		.amdhsa_float_round_mode_16_64 0
		.amdhsa_float_denorm_mode_32 3
		.amdhsa_float_denorm_mode_16_64 3
		.amdhsa_dx10_clamp 1
		.amdhsa_ieee_mode 1
		.amdhsa_fp16_overflow 0
		.amdhsa_workgroup_processor_mode 1
		.amdhsa_memory_ordered 1
		.amdhsa_forward_progress 0
		.amdhsa_shared_vgpr_count 0
		.amdhsa_exception_fp_ieee_invalid_op 0
		.amdhsa_exception_fp_denorm_src 0
		.amdhsa_exception_fp_ieee_div_zero 0
		.amdhsa_exception_fp_ieee_overflow 0
		.amdhsa_exception_fp_ieee_underflow 0
		.amdhsa_exception_fp_ieee_inexact 0
		.amdhsa_exception_int_div_zero 0
	.end_amdhsa_kernel
	.section	.text._ZN4vllm18act_and_mul_kernelIN3c104HalfE7__half2TnPFT_RKS4_EXadL_ZNS_11silu_kernelIS2_EES4_S6_EETnPFT0_RKSA_EXadL_ZNS_18packed_silu_kernelIS3_EES4_S6_EELb0ELb0ELb0ELb0EEEvPS4_PS5_if,"axG",@progbits,_ZN4vllm18act_and_mul_kernelIN3c104HalfE7__half2TnPFT_RKS4_EXadL_ZNS_11silu_kernelIS2_EES4_S6_EETnPFT0_RKSA_EXadL_ZNS_18packed_silu_kernelIS3_EES4_S6_EELb0ELb0ELb0ELb0EEEvPS4_PS5_if,comdat
.Lfunc_end27:
	.size	_ZN4vllm18act_and_mul_kernelIN3c104HalfE7__half2TnPFT_RKS4_EXadL_ZNS_11silu_kernelIS2_EES4_S6_EETnPFT0_RKSA_EXadL_ZNS_18packed_silu_kernelIS3_EES4_S6_EELb0ELb0ELb0ELb0EEEvPS4_PS5_if, .Lfunc_end27-_ZN4vllm18act_and_mul_kernelIN3c104HalfE7__half2TnPFT_RKS4_EXadL_ZNS_11silu_kernelIS2_EES4_S6_EETnPFT0_RKSA_EXadL_ZNS_18packed_silu_kernelIS3_EES4_S6_EELb0ELb0ELb0ELb0EEEvPS4_PS5_if
                                        ; -- End function
	.section	.AMDGPU.csdata,"",@progbits
; Kernel info:
; codeLenInByte = 2260
; NumSgprs: 21
; NumVgprs: 29
; ScratchSize: 0
; MemoryBound: 0
; FloatMode: 240
; IeeeMode: 1
; LDSByteSize: 0 bytes/workgroup (compile time only)
; SGPRBlocks: 2
; VGPRBlocks: 3
; NumSGPRsForWavesPerEU: 21
; NumVGPRsForWavesPerEU: 29
; Occupancy: 16
; WaveLimiterHint : 0
; COMPUTE_PGM_RSRC2:SCRATCH_EN: 0
; COMPUTE_PGM_RSRC2:USER_SGPR: 15
; COMPUTE_PGM_RSRC2:TRAP_HANDLER: 0
; COMPUTE_PGM_RSRC2:TGID_X_EN: 1
; COMPUTE_PGM_RSRC2:TGID_Y_EN: 0
; COMPUTE_PGM_RSRC2:TGID_Z_EN: 0
; COMPUTE_PGM_RSRC2:TIDIG_COMP_CNT: 0
	.section	.text._ZN4vllm18act_and_mul_kernelIN3c108BFloat16E15__hip_bfloat162TnPFT_RKS4_EXadL_ZNS_11silu_kernelIS2_EES4_S6_EETnPFT0_RKSA_EXadL_ZNS_18packed_silu_kernelIS3_EES4_S6_EELb0ELb0ELb0ELb0EEEvPS4_PS5_if,"axG",@progbits,_ZN4vllm18act_and_mul_kernelIN3c108BFloat16E15__hip_bfloat162TnPFT_RKS4_EXadL_ZNS_11silu_kernelIS2_EES4_S6_EETnPFT0_RKSA_EXadL_ZNS_18packed_silu_kernelIS3_EES4_S6_EELb0ELb0ELb0ELb0EEEvPS4_PS5_if,comdat
	.protected	_ZN4vllm18act_and_mul_kernelIN3c108BFloat16E15__hip_bfloat162TnPFT_RKS4_EXadL_ZNS_11silu_kernelIS2_EES4_S6_EETnPFT0_RKSA_EXadL_ZNS_18packed_silu_kernelIS3_EES4_S6_EELb0ELb0ELb0ELb0EEEvPS4_PS5_if ; -- Begin function _ZN4vllm18act_and_mul_kernelIN3c108BFloat16E15__hip_bfloat162TnPFT_RKS4_EXadL_ZNS_11silu_kernelIS2_EES4_S6_EETnPFT0_RKSA_EXadL_ZNS_18packed_silu_kernelIS3_EES4_S6_EELb0ELb0ELb0ELb0EEEvPS4_PS5_if
	.globl	_ZN4vllm18act_and_mul_kernelIN3c108BFloat16E15__hip_bfloat162TnPFT_RKS4_EXadL_ZNS_11silu_kernelIS2_EES4_S6_EETnPFT0_RKSA_EXadL_ZNS_18packed_silu_kernelIS3_EES4_S6_EELb0ELb0ELb0ELb0EEEvPS4_PS5_if
	.p2align	8
	.type	_ZN4vllm18act_and_mul_kernelIN3c108BFloat16E15__hip_bfloat162TnPFT_RKS4_EXadL_ZNS_11silu_kernelIS2_EES4_S6_EETnPFT0_RKSA_EXadL_ZNS_18packed_silu_kernelIS3_EES4_S6_EELb0ELb0ELb0ELb0EEEvPS4_PS5_if,@function
_ZN4vllm18act_and_mul_kernelIN3c108BFloat16E15__hip_bfloat162TnPFT_RKS4_EXadL_ZNS_11silu_kernelIS2_EES4_S6_EETnPFT0_RKSA_EXadL_ZNS_18packed_silu_kernelIS3_EES4_S6_EELb0ELb0ELb0ELb0EEEvPS4_PS5_if: ; @_ZN4vllm18act_and_mul_kernelIN3c108BFloat16E15__hip_bfloat162TnPFT_RKS4_EXadL_ZNS_11silu_kernelIS2_EES4_S6_EETnPFT0_RKSA_EXadL_ZNS_18packed_silu_kernelIS3_EES4_S6_EELb0ELb0ELb0ELb0EEEvPS4_PS5_if
; %bb.0:
	s_load_b32 s8, s[0:1], 0x10
	s_mov_b32 s2, exec_lo
	s_waitcnt lgkmcnt(0)
	v_cmpx_gt_i32_e64 s8, v0
	s_cbranch_execz .LBB28_12
; %bb.1:
	s_load_b32 s2, s[0:1], 0x24
	s_ashr_i32 s9, s8, 31
	s_waitcnt lgkmcnt(0)
	s_and_b32 s14, s2, 0xffff
	s_delay_alu instid0(SALU_CYCLE_1) | instskip(NEXT) | instid1(VALU_DEP_1)
	v_add_co_u32 v1, s2, v0, s14
	v_add_co_ci_u32_e64 v2, null, 0, 0, s2
	s_delay_alu instid0(VALU_DEP_1) | instskip(SKIP_1) | instid1(VALU_DEP_2)
	v_cmp_gt_i64_e64 s2, s[8:9], v[1:2]
	v_cmp_lt_i64_e32 vcc_lo, s[8:9], v[1:2]
	v_cndmask_b32_e64 v6, 0, 1, s2
	v_cndmask_b32_e32 v3, s9, v2, vcc_lo
	v_cndmask_b32_e32 v4, s8, v1, vcc_lo
	s_mov_b32 s2, exec_lo
	s_delay_alu instid0(VALU_DEP_3) | instskip(SKIP_2) | instid1(VALU_DEP_3)
	v_add_co_u32 v5, vcc_lo, v1, v6
	v_mov_b32_e32 v1, 0
	v_add_co_ci_u32_e32 v2, vcc_lo, 0, v2, vcc_lo
	v_sub_co_u32 v7, vcc_lo, v4, v5
                                        ; implicit-def: $vgpr4_vgpr5
	s_delay_alu instid0(VALU_DEP_2) | instskip(NEXT) | instid1(VALU_DEP_4)
	v_sub_co_ci_u32_e32 v3, vcc_lo, v3, v2, vcc_lo
	v_mov_b32_e32 v2, v1
	s_delay_alu instid0(VALU_DEP_1)
	v_cmpx_ne_u64_e32 0, v[2:3]
	s_xor_b32 s3, exec_lo, s2
	s_cbranch_execz .LBB28_3
; %bb.2:
	v_cvt_f32_u32_e32 v2, s14
	s_sub_u32 s2, 0, s14
	s_subb_u32 s4, 0, 0
	s_delay_alu instid0(VALU_DEP_1) | instskip(NEXT) | instid1(VALU_DEP_1)
	v_fmamk_f32 v2, 0, 0x4f800000, v2
	v_rcp_f32_e32 v2, v2
	s_waitcnt_depctr 0xfff
	v_mul_f32_e32 v2, 0x5f7ffffc, v2
	s_delay_alu instid0(VALU_DEP_1) | instskip(NEXT) | instid1(VALU_DEP_1)
	v_mul_f32_e32 v4, 0x2f800000, v2
	v_trunc_f32_e32 v4, v4
	s_delay_alu instid0(VALU_DEP_1) | instskip(SKIP_1) | instid1(VALU_DEP_2)
	v_fmamk_f32 v2, v4, 0xcf800000, v2
	v_cvt_u32_f32_e32 v4, v4
	v_cvt_u32_f32_e32 v2, v2
	s_delay_alu instid0(VALU_DEP_2) | instskip(NEXT) | instid1(VALU_DEP_2)
	v_mul_lo_u32 v5, s2, v4
	v_mul_hi_u32 v8, s2, v2
	v_mul_lo_u32 v9, s4, v2
	s_delay_alu instid0(VALU_DEP_2) | instskip(SKIP_1) | instid1(VALU_DEP_2)
	v_add_nc_u32_e32 v5, v8, v5
	v_mul_lo_u32 v8, s2, v2
	v_add_nc_u32_e32 v5, v5, v9
	s_delay_alu instid0(VALU_DEP_2) | instskip(NEXT) | instid1(VALU_DEP_2)
	v_mul_hi_u32 v9, v2, v8
	v_mul_lo_u32 v10, v2, v5
	v_mul_hi_u32 v11, v2, v5
	v_mul_hi_u32 v12, v4, v8
	v_mul_lo_u32 v8, v4, v8
	v_mul_hi_u32 v13, v4, v5
	v_mul_lo_u32 v5, v4, v5
	v_add_co_u32 v9, vcc_lo, v9, v10
	v_add_co_ci_u32_e32 v10, vcc_lo, 0, v11, vcc_lo
	s_delay_alu instid0(VALU_DEP_2) | instskip(NEXT) | instid1(VALU_DEP_2)
	v_add_co_u32 v8, vcc_lo, v9, v8
	v_add_co_ci_u32_e32 v8, vcc_lo, v10, v12, vcc_lo
	v_add_co_ci_u32_e32 v9, vcc_lo, 0, v13, vcc_lo
	s_delay_alu instid0(VALU_DEP_2) | instskip(NEXT) | instid1(VALU_DEP_2)
	v_add_co_u32 v5, vcc_lo, v8, v5
	v_add_co_ci_u32_e32 v8, vcc_lo, 0, v9, vcc_lo
	s_delay_alu instid0(VALU_DEP_2) | instskip(NEXT) | instid1(VALU_DEP_2)
	v_add_co_u32 v2, vcc_lo, v2, v5
	v_add_co_ci_u32_e32 v4, vcc_lo, v4, v8, vcc_lo
	s_delay_alu instid0(VALU_DEP_2) | instskip(SKIP_1) | instid1(VALU_DEP_3)
	v_mul_hi_u32 v5, s2, v2
	v_mul_lo_u32 v9, s4, v2
	v_mul_lo_u32 v8, s2, v4
	s_delay_alu instid0(VALU_DEP_1) | instskip(SKIP_1) | instid1(VALU_DEP_2)
	v_add_nc_u32_e32 v5, v5, v8
	v_mul_lo_u32 v8, s2, v2
	v_add_nc_u32_e32 v5, v5, v9
	s_delay_alu instid0(VALU_DEP_2) | instskip(NEXT) | instid1(VALU_DEP_2)
	v_mul_hi_u32 v9, v2, v8
	v_mul_lo_u32 v10, v2, v5
	v_mul_hi_u32 v11, v2, v5
	v_mul_hi_u32 v12, v4, v8
	v_mul_lo_u32 v8, v4, v8
	v_mul_hi_u32 v13, v4, v5
	v_mul_lo_u32 v5, v4, v5
	v_add_co_u32 v9, vcc_lo, v9, v10
	v_add_co_ci_u32_e32 v10, vcc_lo, 0, v11, vcc_lo
	s_delay_alu instid0(VALU_DEP_2) | instskip(NEXT) | instid1(VALU_DEP_2)
	v_add_co_u32 v8, vcc_lo, v9, v8
	v_add_co_ci_u32_e32 v8, vcc_lo, v10, v12, vcc_lo
	v_add_co_ci_u32_e32 v9, vcc_lo, 0, v13, vcc_lo
	s_delay_alu instid0(VALU_DEP_2) | instskip(NEXT) | instid1(VALU_DEP_2)
	v_add_co_u32 v5, vcc_lo, v8, v5
	v_add_co_ci_u32_e32 v8, vcc_lo, 0, v9, vcc_lo
	s_delay_alu instid0(VALU_DEP_2) | instskip(NEXT) | instid1(VALU_DEP_2)
	v_add_co_u32 v2, vcc_lo, v2, v5
	v_add_co_ci_u32_e32 v12, vcc_lo, v4, v8, vcc_lo
	s_delay_alu instid0(VALU_DEP_2) | instskip(SKIP_1) | instid1(VALU_DEP_3)
	v_mul_hi_u32 v13, v7, v2
	v_mad_u64_u32 v[8:9], null, v3, v2, 0
	v_mad_u64_u32 v[4:5], null, v7, v12, 0
	;; [unrolled: 1-line block ×3, first 2 shown]
	s_delay_alu instid0(VALU_DEP_2) | instskip(NEXT) | instid1(VALU_DEP_3)
	v_add_co_u32 v2, vcc_lo, v13, v4
	v_add_co_ci_u32_e32 v4, vcc_lo, 0, v5, vcc_lo
	s_delay_alu instid0(VALU_DEP_2) | instskip(NEXT) | instid1(VALU_DEP_2)
	v_add_co_u32 v2, vcc_lo, v2, v8
	v_add_co_ci_u32_e32 v2, vcc_lo, v4, v9, vcc_lo
	v_add_co_ci_u32_e32 v4, vcc_lo, 0, v11, vcc_lo
	s_delay_alu instid0(VALU_DEP_2) | instskip(NEXT) | instid1(VALU_DEP_2)
	v_add_co_u32 v10, vcc_lo, v2, v10
	v_add_co_ci_u32_e32 v11, vcc_lo, 0, v4, vcc_lo
	s_delay_alu instid0(VALU_DEP_2) | instskip(NEXT) | instid1(VALU_DEP_1)
	v_mad_u64_u32 v[4:5], null, s14, v10, 0
	v_mov_b32_e32 v2, v5
	s_delay_alu instid0(VALU_DEP_1) | instskip(NEXT) | instid1(VALU_DEP_3)
	v_mad_u64_u32 v[8:9], null, s14, v11, v[2:3]
	v_sub_co_u32 v2, vcc_lo, v7, v4
	s_delay_alu instid0(VALU_DEP_2) | instskip(NEXT) | instid1(VALU_DEP_2)
	v_sub_co_ci_u32_e32 v3, vcc_lo, v3, v8, vcc_lo
	v_sub_co_u32 v4, vcc_lo, v2, s14
	s_delay_alu instid0(VALU_DEP_2) | instskip(NEXT) | instid1(VALU_DEP_2)
	v_subrev_co_ci_u32_e32 v5, vcc_lo, 0, v3, vcc_lo
	v_cmp_le_u32_e32 vcc_lo, s14, v4
	v_cmp_eq_u32_e64 s2, 0, v3
	v_cndmask_b32_e64 v4, 0, -1, vcc_lo
	v_add_co_u32 v7, vcc_lo, v10, 2
	v_add_co_ci_u32_e32 v8, vcc_lo, 0, v11, vcc_lo
	v_cmp_le_u32_e32 vcc_lo, s14, v2
	v_cndmask_b32_e64 v2, 0, -1, vcc_lo
	v_cmp_eq_u32_e32 vcc_lo, 0, v5
	s_delay_alu instid0(VALU_DEP_2) | instskip(SKIP_3) | instid1(VALU_DEP_3)
	v_cndmask_b32_e64 v2, -1, v2, s2
	v_cndmask_b32_e32 v4, -1, v4, vcc_lo
	v_add_co_u32 v5, vcc_lo, v10, 1
	v_add_co_ci_u32_e32 v9, vcc_lo, 0, v11, vcc_lo
	v_cmp_ne_u32_e32 vcc_lo, 0, v4
	s_delay_alu instid0(VALU_DEP_2) | instskip(NEXT) | instid1(VALU_DEP_4)
	v_cndmask_b32_e32 v3, v9, v8, vcc_lo
	v_cndmask_b32_e32 v4, v5, v7, vcc_lo
	v_cmp_ne_u32_e32 vcc_lo, 0, v2
                                        ; implicit-def: $vgpr7
	s_delay_alu instid0(VALU_DEP_2)
	v_dual_cndmask_b32 v5, v11, v3 :: v_dual_cndmask_b32 v4, v10, v4
.LBB28_3:
	s_or_saveexec_b32 s2, s3
	s_load_b128 s[4:7], s[0:1], 0x0
	s_xor_b32 exec_lo, exec_lo, s2
	s_cbranch_execz .LBB28_5
; %bb.4:
	v_cvt_f32_u32_e32 v2, s14
	s_sub_i32 s0, 0, s14
	s_delay_alu instid0(VALU_DEP_1) | instskip(SKIP_2) | instid1(VALU_DEP_1)
	v_rcp_iflag_f32_e32 v2, v2
	s_waitcnt_depctr 0xfff
	v_mul_f32_e32 v2, 0x4f7ffffe, v2
	v_cvt_u32_f32_e32 v2, v2
	s_delay_alu instid0(VALU_DEP_1) | instskip(NEXT) | instid1(VALU_DEP_1)
	v_mul_lo_u32 v3, s0, v2
	v_mul_hi_u32 v3, v2, v3
	s_delay_alu instid0(VALU_DEP_1) | instskip(NEXT) | instid1(VALU_DEP_1)
	v_add_nc_u32_e32 v2, v2, v3
	v_mul_hi_u32 v2, v7, v2
	s_delay_alu instid0(VALU_DEP_1) | instskip(SKIP_1) | instid1(VALU_DEP_2)
	v_mul_lo_u32 v3, v2, s14
	v_add_nc_u32_e32 v4, 1, v2
	v_sub_nc_u32_e32 v3, v7, v3
	s_delay_alu instid0(VALU_DEP_1) | instskip(SKIP_1) | instid1(VALU_DEP_2)
	v_subrev_nc_u32_e32 v5, s14, v3
	v_cmp_le_u32_e32 vcc_lo, s14, v3
	v_cndmask_b32_e32 v3, v3, v5, vcc_lo
	v_dual_mov_b32 v5, 0 :: v_dual_cndmask_b32 v2, v2, v4
	s_delay_alu instid0(VALU_DEP_2) | instskip(NEXT) | instid1(VALU_DEP_2)
	v_cmp_le_u32_e32 vcc_lo, s14, v3
	v_add_nc_u32_e32 v4, 1, v2
	s_delay_alu instid0(VALU_DEP_1)
	v_cndmask_b32_e32 v4, v2, v4, vcc_lo
.LBB28_5:
	s_or_b32 exec_lo, exec_lo, s2
	s_delay_alu instid0(VALU_DEP_1) | instskip(SKIP_2) | instid1(VALU_DEP_3)
	v_add_co_u32 v2, vcc_lo, v4, v6
	v_add_co_ci_u32_e32 v3, vcc_lo, 0, v5, vcc_lo
	v_cmp_eq_u16_e64 s0, s14, 1
	v_add_co_u32 v2, vcc_lo, v2, 1
	s_delay_alu instid0(VALU_DEP_3) | instskip(SKIP_3) | instid1(VALU_DEP_1)
	v_add_co_ci_u32_e32 v3, vcc_lo, 0, v3, vcc_lo
	s_mul_i32 s2, s15, s8
	s_mov_b32 s11, 0
	s_lshl_b32 s10, s2, 1
	v_cmp_lt_u64_e32 vcc_lo, 1, v[2:3]
	s_mov_b32 s3, s11
	s_and_b32 s12, vcc_lo, s0
	s_mov_b32 s0, -1
	s_and_saveexec_b32 s1, s12
	s_cbranch_execz .LBB28_9
; %bb.6:
	v_lshlrev_b32_e32 v6, 1, v0
	s_lshl_b64 s[12:13], s[10:11], 1
	v_dual_mov_b32 v5, v3 :: v_dual_and_b32 v4, -2, v2
	s_waitcnt lgkmcnt(0)
	s_add_u32 s0, s6, s12
	s_addc_u32 s12, s7, s13
	v_add_co_u32 v8, s0, s0, v6
	s_lshl_b64 s[16:17], s[2:3], 1
	v_add_co_ci_u32_e64 v9, null, s12, 0, s0
	s_lshl_b32 s15, s14, 2
	s_lshl_b64 s[12:13], s[8:9], 1
	s_add_u32 s0, s4, s16
	v_add_co_u32 v10, vcc_lo, v8, s12
	s_addc_u32 s12, s5, s17
	v_add_co_u32 v12, s0, s0, v6
	v_add_co_ci_u32_e32 v11, vcc_lo, s13, v9, vcc_lo
	v_add_co_ci_u32_e64 v13, null, s12, 0, s0
	v_dual_mov_b32 v7, v5 :: v_dual_mov_b32 v6, v4
	s_mov_b64 s[12:13], 0
	s_mov_b32 s16, s11
.LBB28_7:                               ; =>This Inner Loop Header: Depth=1
	v_add_co_u32 v14, vcc_lo, v10, s12
	v_add_co_ci_u32_e32 v15, vcc_lo, s13, v11, vcc_lo
	v_add_co_u32 v16, vcc_lo, v8, s12
	v_add_co_ci_u32_e32 v17, vcc_lo, s13, v9, vcc_lo
	s_clause 0x1
	global_load_b32 v14, v[14:15], off
	global_load_b32 v15, v[16:17], off
	s_waitcnt vmcnt(1)
	v_and_b32_e32 v16, 0xffff0000, v14
	s_delay_alu instid0(VALU_DEP_1) | instskip(SKIP_1) | instid1(VALU_DEP_2)
	v_xor_b32_e32 v17, 0x80000000, v16
	v_cmp_o_f32_e64 s0, v16, v16
	v_bfe_u32 v19, v17, 16, 1
	s_delay_alu instid0(VALU_DEP_1) | instskip(NEXT) | instid1(VALU_DEP_1)
	v_add3_u32 v17, v17, v19, 0x7fff
	v_and_b32_e32 v17, 0xffff0000, v17
	s_delay_alu instid0(VALU_DEP_1) | instskip(NEXT) | instid1(VALU_DEP_1)
	v_cndmask_b32_e64 v17, 0x7fc00000, v17, s0
	v_dual_mul_f32 v19, 0x3fb8aa3b, v17 :: v_dual_lshlrev_b32 v14, 16, v14
	s_delay_alu instid0(VALU_DEP_1) | instskip(SKIP_2) | instid1(VALU_DEP_4)
	v_xor_b32_e32 v18, 0x80000000, v14
	v_cmp_ngt_f32_e64 s0, 0xc2ce8ed0, v17
	v_cmp_o_f32_e32 vcc_lo, v14, v14
	v_fma_f32 v21, 0x3fb8aa3b, v17, -v19
	v_rndne_f32_e32 v22, v19
	v_bfe_u32 v20, v18, 16, 1
	s_delay_alu instid0(VALU_DEP_3) | instskip(NEXT) | instid1(VALU_DEP_3)
	v_fmac_f32_e32 v21, 0x32a5705f, v17
	v_sub_f32_e32 v19, v19, v22
	s_delay_alu instid0(VALU_DEP_3) | instskip(NEXT) | instid1(VALU_DEP_2)
	v_add3_u32 v18, v18, v20, 0x7fff
	v_add_f32_e32 v19, v19, v21
	v_cvt_i32_f32_e32 v21, v22
	s_delay_alu instid0(VALU_DEP_2) | instskip(SKIP_2) | instid1(VALU_DEP_1)
	v_exp_f32_e32 v19, v19
	s_waitcnt_depctr 0xfff
	v_ldexp_f32 v19, v19, v21
	v_cndmask_b32_e64 v19, 0, v19, s0
	v_cmp_nlt_f32_e64 s0, 0x42b17218, v17
	s_delay_alu instid0(VALU_DEP_1) | instskip(NEXT) | instid1(VALU_DEP_1)
	v_cndmask_b32_e64 v17, 0x7f800000, v19, s0
	v_dual_add_f32 v17, 1.0, v17 :: v_dual_and_b32 v18, 0xffff0000, v18
	s_delay_alu instid0(VALU_DEP_1) | instskip(NEXT) | instid1(VALU_DEP_1)
	v_div_scale_f32 v19, null, v17, v17, v16
	v_rcp_f32_e32 v21, v19
	s_waitcnt_depctr 0xfff
	v_fma_f32 v25, -v19, v21, 1.0
	s_delay_alu instid0(VALU_DEP_1) | instskip(NEXT) | instid1(VALU_DEP_1)
	v_dual_cndmask_b32 v18, 0x7fc00000, v18 :: v_dual_fmac_f32 v21, v25, v21
	v_mul_f32_e32 v20, 0x3fb8aa3b, v18
	v_cmp_ngt_f32_e32 vcc_lo, 0xc2ce8ed0, v18
	s_delay_alu instid0(VALU_DEP_2) | instskip(SKIP_1) | instid1(VALU_DEP_1)
	v_fma_f32 v23, 0x3fb8aa3b, v18, -v20
	v_rndne_f32_e32 v24, v20
	v_dual_fmac_f32 v23, 0x32a5705f, v18 :: v_dual_sub_f32 v20, v20, v24
	v_cvt_i32_f32_e32 v22, v24
	s_delay_alu instid0(VALU_DEP_2) | instskip(NEXT) | instid1(VALU_DEP_1)
	v_add_f32_e32 v20, v20, v23
	v_exp_f32_e32 v20, v20
	s_waitcnt_depctr 0xfff
	v_ldexp_f32 v20, v20, v22
	s_delay_alu instid0(VALU_DEP_1) | instskip(SKIP_1) | instid1(VALU_DEP_2)
	v_cndmask_b32_e32 v20, 0, v20, vcc_lo
	v_cmp_nlt_f32_e32 vcc_lo, 0x42b17218, v18
	v_cndmask_b32_e32 v18, 0x7f800000, v20, vcc_lo
	v_div_scale_f32 v23, vcc_lo, v16, v17, v16
	s_delay_alu instid0(VALU_DEP_1) | instskip(NEXT) | instid1(VALU_DEP_1)
	v_mul_f32_e32 v25, v23, v21
	v_fma_f32 v27, -v19, v25, v23
	s_delay_alu instid0(VALU_DEP_1) | instskip(NEXT) | instid1(VALU_DEP_1)
	v_dual_fmac_f32 v25, v27, v21 :: v_dual_add_f32 v18, 1.0, v18
	v_fma_f32 v19, -v19, v25, v23
	s_delay_alu instid0(VALU_DEP_1) | instskip(NEXT) | instid1(VALU_DEP_1)
	v_div_fmas_f32 v19, v19, v21, v25
	v_div_fixup_f32 v16, v19, v17, v16
	s_waitcnt vmcnt(0)
	v_and_b32_e32 v19, 0xffff0000, v15
	v_div_scale_f32 v20, null, v18, v18, v14
	v_div_scale_f32 v24, s0, v14, v18, v14
	v_bfe_u32 v17, v16, 16, 1
	s_delay_alu instid0(VALU_DEP_3) | instskip(SKIP_2) | instid1(VALU_DEP_2)
	v_rcp_f32_e32 v22, v20
	s_mov_b32 vcc_lo, s0
	v_lshlrev_b32_e32 v15, 16, v15
	v_add3_u32 v17, v16, v17, 0x7fff
	s_delay_alu instid0(VALU_DEP_1) | instskip(SKIP_2) | instid1(VALU_DEP_1)
	v_and_b32_e32 v17, 0xffff0000, v17
	s_waitcnt_depctr 0xfff
	v_fma_f32 v26, -v20, v22, 1.0
	v_fmac_f32_e32 v22, v26, v22
	s_delay_alu instid0(VALU_DEP_1) | instskip(NEXT) | instid1(VALU_DEP_1)
	v_mul_f32_e32 v26, v24, v22
	v_fma_f32 v28, -v20, v26, v24
	s_delay_alu instid0(VALU_DEP_1) | instskip(NEXT) | instid1(VALU_DEP_1)
	v_fmac_f32_e32 v26, v28, v22
	v_fma_f32 v20, -v20, v26, v24
	s_delay_alu instid0(VALU_DEP_1) | instskip(SKIP_1) | instid1(VALU_DEP_2)
	v_div_fmas_f32 v20, v20, v22, v26
	v_cmp_o_f32_e32 vcc_lo, v16, v16
	v_div_fixup_f32 v14, v20, v18, v14
	s_delay_alu instid0(VALU_DEP_1) | instskip(SKIP_1) | instid1(VALU_DEP_2)
	v_bfe_u32 v18, v14, 16, 1
	v_cmp_o_f32_e64 s0, v14, v14
	v_add3_u32 v18, v14, v18, 0x7fff
	v_cndmask_b32_e32 v14, 0x7fc00000, v17, vcc_lo
	v_add_co_u32 v6, vcc_lo, v6, -2
	v_add_co_ci_u32_e32 v7, vcc_lo, -1, v7, vcc_lo
	s_delay_alu instid0(VALU_DEP_4) | instskip(NEXT) | instid1(VALU_DEP_4)
	v_and_b32_e32 v18, 0xffff0000, v18
	v_mul_f32_e32 v14, v14, v19
	s_delay_alu instid0(VALU_DEP_2) | instskip(NEXT) | instid1(VALU_DEP_2)
	v_cndmask_b32_e64 v16, 0x7fc00000, v18, s0
	v_cmp_o_f32_e32 vcc_lo, v14, v14
	s_delay_alu instid0(VALU_DEP_2) | instskip(SKIP_1) | instid1(VALU_DEP_2)
	v_mul_f32_e32 v15, v16, v15
	v_bfe_u32 v16, v14, 16, 1
	v_bfe_u32 v17, v15, 16, 1
	s_delay_alu instid0(VALU_DEP_2) | instskip(SKIP_1) | instid1(VALU_DEP_3)
	v_add3_u32 v16, v14, v16, 0x7fff
	v_cmp_o_f32_e64 s0, v15, v15
	v_add3_u32 v17, v15, v17, 0x7fff
	s_delay_alu instid0(VALU_DEP_3) | instskip(NEXT) | instid1(VALU_DEP_2)
	v_lshrrev_b32_e32 v16, 16, v16
	v_lshrrev_b32_e32 v17, 16, v17
	s_delay_alu instid0(VALU_DEP_2) | instskip(SKIP_2) | instid1(VALU_DEP_4)
	v_cndmask_b32_e32 v16, 0x7fc0, v16, vcc_lo
	v_add_co_u32 v14, vcc_lo, v12, s12
	v_add_co_ci_u32_e32 v15, vcc_lo, s13, v13, vcc_lo
	v_cndmask_b32_e64 v17, 0x7fc0, v17, s0
	v_cmp_eq_u64_e64 s0, 0, v[6:7]
	s_add_u32 s12, s12, s15
	s_addc_u32 s13, s13, 0
	s_delay_alu instid0(VALU_DEP_2) | instskip(NEXT) | instid1(VALU_DEP_2)
	v_perm_b32 v16, v16, v17, 0x5040100
	s_or_b32 s16, s0, s16
	global_store_b32 v[14:15], v16, off
	s_and_not1_b32 exec_lo, exec_lo, s16
	s_cbranch_execnz .LBB28_7
; %bb.8:
	s_or_b32 exec_lo, exec_lo, s16
	v_mad_u64_u32 v[6:7], null, v4, s14, v[0:1]
	v_cmp_ne_u64_e32 vcc_lo, v[2:3], v[4:5]
	s_or_not1_b32 s0, vcc_lo, exec_lo
	s_delay_alu instid0(VALU_DEP_2) | instskip(NEXT) | instid1(VALU_DEP_1)
	v_mov_b32_e32 v0, v7
	v_mad_u64_u32 v[7:8], null, v5, s14, v[0:1]
	s_delay_alu instid0(VALU_DEP_1)
	v_dual_mov_b32 v0, v6 :: v_dual_mov_b32 v1, v7
.LBB28_9:
	s_or_b32 exec_lo, exec_lo, s1
	s_delay_alu instid0(SALU_CYCLE_1)
	s_and_b32 exec_lo, exec_lo, s0
	s_cbranch_execz .LBB28_12
; %bb.10:
	s_lshl_b64 s[0:1], s[10:11], 1
	v_lshlrev_b64 v[2:3], 1, v[0:1]
	s_waitcnt lgkmcnt(0)
	s_add_u32 s6, s6, s0
	s_addc_u32 s7, s7, s1
	s_lshl_b64 s[0:1], s[8:9], 1
	s_delay_alu instid0(SALU_CYCLE_1) | instskip(SKIP_2) | instid1(SALU_CYCLE_1)
	s_add_u32 s10, s6, s0
	s_addc_u32 s11, s7, s1
	s_lshl_b64 s[0:1], s[2:3], 1
	s_add_u32 s2, s4, s0
	s_addc_u32 s3, s5, s1
	s_lshl_b32 s4, s14, 1
	s_mov_b32 s5, 0
.LBB28_11:                              ; =>This Inner Loop Header: Depth=1
	v_add_co_u32 v4, vcc_lo, s10, v2
	v_add_co_ci_u32_e32 v5, vcc_lo, s11, v3, vcc_lo
	global_load_u16 v6, v[4:5], off
	v_add_co_u32 v4, vcc_lo, s6, v2
	v_add_co_ci_u32_e32 v5, vcc_lo, s7, v3, vcc_lo
	global_load_u16 v4, v[4:5], off
	s_waitcnt vmcnt(1)
	v_lshlrev_b32_e32 v5, 16, v6
	s_delay_alu instid0(VALU_DEP_1) | instskip(SKIP_1) | instid1(VALU_DEP_2)
	v_xor_b32_e32 v6, 0x80000000, v5
	v_cmp_o_f32_e32 vcc_lo, v5, v5
	v_bfe_u32 v7, v6, 16, 1
	s_delay_alu instid0(VALU_DEP_1) | instskip(NEXT) | instid1(VALU_DEP_1)
	v_add3_u32 v6, v6, v7, 0x7fff
	v_and_b32_e32 v6, 0xffff0000, v6
	s_delay_alu instid0(VALU_DEP_1) | instskip(NEXT) | instid1(VALU_DEP_1)
	v_cndmask_b32_e32 v6, 0x7fc00000, v6, vcc_lo
	v_mul_f32_e32 v7, 0x3fb8aa3b, v6
	s_delay_alu instid0(VALU_DEP_1) | instskip(SKIP_1) | instid1(VALU_DEP_1)
	v_fma_f32 v8, 0x3fb8aa3b, v6, -v7
	v_rndne_f32_e32 v9, v7
	v_dual_fmac_f32 v8, 0x32a5705f, v6 :: v_dual_sub_f32 v7, v7, v9
	s_delay_alu instid0(VALU_DEP_1) | instskip(SKIP_2) | instid1(VALU_DEP_3)
	v_add_f32_e32 v7, v7, v8
	v_cvt_i32_f32_e32 v8, v9
	v_cmp_ngt_f32_e32 vcc_lo, 0xc2ce8ed0, v6
	v_exp_f32_e32 v7, v7
	s_waitcnt_depctr 0xfff
	v_ldexp_f32 v7, v7, v8
	s_delay_alu instid0(VALU_DEP_1) | instskip(SKIP_1) | instid1(VALU_DEP_2)
	v_cndmask_b32_e32 v7, 0, v7, vcc_lo
	v_cmp_nlt_f32_e32 vcc_lo, 0x42b17218, v6
	v_cndmask_b32_e32 v6, 0x7f800000, v7, vcc_lo
	s_delay_alu instid0(VALU_DEP_1) | instskip(NEXT) | instid1(VALU_DEP_1)
	v_add_f32_e32 v6, 1.0, v6
	v_div_scale_f32 v7, null, v6, v6, v5
	v_div_scale_f32 v10, vcc_lo, v5, v6, v5
	s_delay_alu instid0(VALU_DEP_2) | instskip(SKIP_2) | instid1(VALU_DEP_1)
	v_rcp_f32_e32 v8, v7
	s_waitcnt_depctr 0xfff
	v_fma_f32 v9, -v7, v8, 1.0
	v_fmac_f32_e32 v8, v9, v8
	s_delay_alu instid0(VALU_DEP_1) | instskip(NEXT) | instid1(VALU_DEP_1)
	v_mul_f32_e32 v9, v10, v8
	v_fma_f32 v11, -v7, v9, v10
	s_delay_alu instid0(VALU_DEP_1) | instskip(NEXT) | instid1(VALU_DEP_1)
	v_fmac_f32_e32 v9, v11, v8
	v_fma_f32 v7, -v7, v9, v10
	s_delay_alu instid0(VALU_DEP_1) | instskip(NEXT) | instid1(VALU_DEP_1)
	v_div_fmas_f32 v7, v7, v8, v9
	v_div_fixup_f32 v5, v7, v6, v5
	s_delay_alu instid0(VALU_DEP_1) | instskip(SKIP_1) | instid1(VALU_DEP_2)
	v_bfe_u32 v6, v5, 16, 1
	v_cmp_o_f32_e32 vcc_lo, v5, v5
	v_add3_u32 v6, v5, v6, 0x7fff
	s_delay_alu instid0(VALU_DEP_1) | instskip(SKIP_1) | instid1(VALU_DEP_1)
	v_and_b32_e32 v6, 0xffff0000, v6
	s_waitcnt vmcnt(0)
	v_dual_cndmask_b32 v5, 0x7fc00000, v6 :: v_dual_lshlrev_b32 v4, 16, v4
	v_add_co_u32 v0, vcc_lo, v0, s14
	v_add_co_ci_u32_e32 v1, vcc_lo, 0, v1, vcc_lo
	s_delay_alu instid0(VALU_DEP_3) | instskip(NEXT) | instid1(VALU_DEP_2)
	v_mul_f32_e32 v6, v5, v4
	v_cmp_le_i64_e64 s0, s[8:9], v[0:1]
	s_delay_alu instid0(VALU_DEP_2) | instskip(SKIP_1) | instid1(VALU_DEP_3)
	v_bfe_u32 v4, v6, 16, 1
	v_cmp_o_f32_e64 s1, v6, v6
	s_or_b32 s5, s0, s5
	s_delay_alu instid0(VALU_DEP_2) | instskip(SKIP_2) | instid1(VALU_DEP_3)
	v_add3_u32 v7, v6, v4, 0x7fff
	v_add_co_u32 v4, vcc_lo, s2, v2
	v_add_co_ci_u32_e32 v5, vcc_lo, s3, v3, vcc_lo
	v_lshrrev_b32_e32 v7, 16, v7
	v_add_co_u32 v2, vcc_lo, v2, s4
	v_add_co_ci_u32_e32 v3, vcc_lo, 0, v3, vcc_lo
	s_delay_alu instid0(VALU_DEP_3)
	v_cndmask_b32_e64 v6, 0x7fc0, v7, s1
	global_store_b16 v[4:5], v6, off
	s_and_not1_b32 exec_lo, exec_lo, s5
	s_cbranch_execnz .LBB28_11
.LBB28_12:
	s_nop 0
	s_sendmsg sendmsg(MSG_DEALLOC_VGPRS)
	s_endpgm
	.section	.rodata,"a",@progbits
	.p2align	6, 0x0
	.amdhsa_kernel _ZN4vllm18act_and_mul_kernelIN3c108BFloat16E15__hip_bfloat162TnPFT_RKS4_EXadL_ZNS_11silu_kernelIS2_EES4_S6_EETnPFT0_RKSA_EXadL_ZNS_18packed_silu_kernelIS3_EES4_S6_EELb0ELb0ELb0ELb0EEEvPS4_PS5_if
		.amdhsa_group_segment_fixed_size 0
		.amdhsa_private_segment_fixed_size 0
		.amdhsa_kernarg_size 280
		.amdhsa_user_sgpr_count 15
		.amdhsa_user_sgpr_dispatch_ptr 0
		.amdhsa_user_sgpr_queue_ptr 0
		.amdhsa_user_sgpr_kernarg_segment_ptr 1
		.amdhsa_user_sgpr_dispatch_id 0
		.amdhsa_user_sgpr_private_segment_size 0
		.amdhsa_wavefront_size32 1
		.amdhsa_uses_dynamic_stack 0
		.amdhsa_enable_private_segment 0
		.amdhsa_system_sgpr_workgroup_id_x 1
		.amdhsa_system_sgpr_workgroup_id_y 0
		.amdhsa_system_sgpr_workgroup_id_z 0
		.amdhsa_system_sgpr_workgroup_info 0
		.amdhsa_system_vgpr_workitem_id 0
		.amdhsa_next_free_vgpr 29
		.amdhsa_next_free_sgpr 18
		.amdhsa_reserve_vcc 1
		.amdhsa_float_round_mode_32 0
		.amdhsa_float_round_mode_16_64 0
		.amdhsa_float_denorm_mode_32 3
		.amdhsa_float_denorm_mode_16_64 3
		.amdhsa_dx10_clamp 1
		.amdhsa_ieee_mode 1
		.amdhsa_fp16_overflow 0
		.amdhsa_workgroup_processor_mode 1
		.amdhsa_memory_ordered 1
		.amdhsa_forward_progress 0
		.amdhsa_shared_vgpr_count 0
		.amdhsa_exception_fp_ieee_invalid_op 0
		.amdhsa_exception_fp_denorm_src 0
		.amdhsa_exception_fp_ieee_div_zero 0
		.amdhsa_exception_fp_ieee_overflow 0
		.amdhsa_exception_fp_ieee_underflow 0
		.amdhsa_exception_fp_ieee_inexact 0
		.amdhsa_exception_int_div_zero 0
	.end_amdhsa_kernel
	.section	.text._ZN4vllm18act_and_mul_kernelIN3c108BFloat16E15__hip_bfloat162TnPFT_RKS4_EXadL_ZNS_11silu_kernelIS2_EES4_S6_EETnPFT0_RKSA_EXadL_ZNS_18packed_silu_kernelIS3_EES4_S6_EELb0ELb0ELb0ELb0EEEvPS4_PS5_if,"axG",@progbits,_ZN4vllm18act_and_mul_kernelIN3c108BFloat16E15__hip_bfloat162TnPFT_RKS4_EXadL_ZNS_11silu_kernelIS2_EES4_S6_EETnPFT0_RKSA_EXadL_ZNS_18packed_silu_kernelIS3_EES4_S6_EELb0ELb0ELb0ELb0EEEvPS4_PS5_if,comdat
.Lfunc_end28:
	.size	_ZN4vllm18act_and_mul_kernelIN3c108BFloat16E15__hip_bfloat162TnPFT_RKS4_EXadL_ZNS_11silu_kernelIS2_EES4_S6_EETnPFT0_RKSA_EXadL_ZNS_18packed_silu_kernelIS3_EES4_S6_EELb0ELb0ELb0ELb0EEEvPS4_PS5_if, .Lfunc_end28-_ZN4vllm18act_and_mul_kernelIN3c108BFloat16E15__hip_bfloat162TnPFT_RKS4_EXadL_ZNS_11silu_kernelIS2_EES4_S6_EETnPFT0_RKSA_EXadL_ZNS_18packed_silu_kernelIS3_EES4_S6_EELb0ELb0ELb0ELb0EEEvPS4_PS5_if
                                        ; -- End function
	.section	.AMDGPU.csdata,"",@progbits
; Kernel info:
; codeLenInByte = 2708
; NumSgprs: 20
; NumVgprs: 29
; ScratchSize: 0
; MemoryBound: 0
; FloatMode: 240
; IeeeMode: 1
; LDSByteSize: 0 bytes/workgroup (compile time only)
; SGPRBlocks: 2
; VGPRBlocks: 3
; NumSGPRsForWavesPerEU: 20
; NumVGPRsForWavesPerEU: 29
; Occupancy: 16
; WaveLimiterHint : 0
; COMPUTE_PGM_RSRC2:SCRATCH_EN: 0
; COMPUTE_PGM_RSRC2:USER_SGPR: 15
; COMPUTE_PGM_RSRC2:TRAP_HANDLER: 0
; COMPUTE_PGM_RSRC2:TGID_X_EN: 1
; COMPUTE_PGM_RSRC2:TGID_Y_EN: 0
; COMPUTE_PGM_RSRC2:TGID_Z_EN: 0
; COMPUTE_PGM_RSRC2:TIDIG_COMP_CNT: 0
	.section	.text._ZN4vllm18act_and_mul_kernelIf15HIP_vector_typeIfLj2EETnPFT_RKS3_EXadL_ZNS_11gelu_kernelIfEES3_S5_EETnPFT0_RKS9_EXadL_ZNS_18packed_gelu_kernelIS2_EES3_S5_EELb1ELb1ELb0ELb1EEEvPS3_PS4_if,"axG",@progbits,_ZN4vllm18act_and_mul_kernelIf15HIP_vector_typeIfLj2EETnPFT_RKS3_EXadL_ZNS_11gelu_kernelIfEES3_S5_EETnPFT0_RKS9_EXadL_ZNS_18packed_gelu_kernelIS2_EES3_S5_EELb1ELb1ELb0ELb1EEEvPS3_PS4_if,comdat
	.protected	_ZN4vllm18act_and_mul_kernelIf15HIP_vector_typeIfLj2EETnPFT_RKS3_EXadL_ZNS_11gelu_kernelIfEES3_S5_EETnPFT0_RKS9_EXadL_ZNS_18packed_gelu_kernelIS2_EES3_S5_EELb1ELb1ELb0ELb1EEEvPS3_PS4_if ; -- Begin function _ZN4vllm18act_and_mul_kernelIf15HIP_vector_typeIfLj2EETnPFT_RKS3_EXadL_ZNS_11gelu_kernelIfEES3_S5_EETnPFT0_RKS9_EXadL_ZNS_18packed_gelu_kernelIS2_EES3_S5_EELb1ELb1ELb0ELb1EEEvPS3_PS4_if
	.globl	_ZN4vllm18act_and_mul_kernelIf15HIP_vector_typeIfLj2EETnPFT_RKS3_EXadL_ZNS_11gelu_kernelIfEES3_S5_EETnPFT0_RKS9_EXadL_ZNS_18packed_gelu_kernelIS2_EES3_S5_EELb1ELb1ELb0ELb1EEEvPS3_PS4_if
	.p2align	8
	.type	_ZN4vllm18act_and_mul_kernelIf15HIP_vector_typeIfLj2EETnPFT_RKS3_EXadL_ZNS_11gelu_kernelIfEES3_S5_EETnPFT0_RKS9_EXadL_ZNS_18packed_gelu_kernelIS2_EES3_S5_EELb1ELb1ELb0ELb1EEEvPS3_PS4_if,@function
_ZN4vllm18act_and_mul_kernelIf15HIP_vector_typeIfLj2EETnPFT_RKS3_EXadL_ZNS_11gelu_kernelIfEES3_S5_EETnPFT0_RKS9_EXadL_ZNS_18packed_gelu_kernelIS2_EES3_S5_EELb1ELb1ELb0ELb1EEEvPS3_PS4_if: ; @_ZN4vllm18act_and_mul_kernelIf15HIP_vector_typeIfLj2EETnPFT_RKS3_EXadL_ZNS_11gelu_kernelIfEES3_S5_EETnPFT0_RKS9_EXadL_ZNS_18packed_gelu_kernelIS2_EES3_S5_EELb1ELb1ELb0ELb1EEEvPS3_PS4_if
; %bb.0:
	s_load_b32 s2, s[0:1], 0x10
	s_mov_b32 s32, 0
	s_waitcnt lgkmcnt(0)
	s_ashr_i32 s3, s2, 31
	s_delay_alu instid0(SALU_CYCLE_1) | instskip(NEXT) | instid1(SALU_CYCLE_1)
	s_lshr_b32 s3, s3, 29
	s_add_i32 s2, s2, s3
	s_delay_alu instid0(SALU_CYCLE_1) | instskip(NEXT) | instid1(SALU_CYCLE_1)
	s_ashr_i32 s2, s2, 3
	v_cmp_gt_i32_e32 vcc_lo, s2, v0
	s_and_saveexec_b32 s2, vcc_lo
	s_cbranch_execz .LBB29_2
; %bb.1:
	s_add_u32 s8, s0, 24
	s_addc_u32 s9, s1, 0
	s_getpc_b64 s[0:1]
	s_add_u32 s0, s0, .str@rel32@lo+4
	s_addc_u32 s1, s1, .str@rel32@hi+12
	s_getpc_b64 s[2:3]
	s_add_u32 s2, s2, __PRETTY_FUNCTION__._ZN4vllm5ld256ERNS_7u32x8_tEPKS0_@rel32@lo+4
	s_addc_u32 s3, s3, __PRETTY_FUNCTION__._ZN4vllm5ld256ERNS_7u32x8_tEPKS0_@rel32@hi+12
	v_dual_mov_b32 v0, s0 :: v_dual_mov_b32 v1, s1
	v_dual_mov_b32 v2, 0x93 :: v_dual_mov_b32 v3, s2
	v_mov_b32_e32 v4, s3
	s_getpc_b64 s[4:5]
	s_add_u32 s4, s4, __assert_fail@rel32@lo+4
	s_addc_u32 s5, s5, __assert_fail@rel32@hi+12
	s_delay_alu instid0(SALU_CYCLE_1)
	s_swappc_b64 s[30:31], s[4:5]
	; divergent unreachable
.LBB29_2:
	s_endpgm
	.section	.rodata,"a",@progbits
	.p2align	6, 0x0
	.amdhsa_kernel _ZN4vllm18act_and_mul_kernelIf15HIP_vector_typeIfLj2EETnPFT_RKS3_EXadL_ZNS_11gelu_kernelIfEES3_S5_EETnPFT0_RKS9_EXadL_ZNS_18packed_gelu_kernelIS2_EES3_S5_EELb1ELb1ELb0ELb1EEEvPS3_PS4_if
		.amdhsa_group_segment_fixed_size 0
		.amdhsa_private_segment_fixed_size 64
		.amdhsa_kernarg_size 280
		.amdhsa_user_sgpr_count 15
		.amdhsa_user_sgpr_dispatch_ptr 0
		.amdhsa_user_sgpr_queue_ptr 0
		.amdhsa_user_sgpr_kernarg_segment_ptr 1
		.amdhsa_user_sgpr_dispatch_id 0
		.amdhsa_user_sgpr_private_segment_size 0
		.amdhsa_wavefront_size32 1
		.amdhsa_uses_dynamic_stack 0
		.amdhsa_enable_private_segment 1
		.amdhsa_system_sgpr_workgroup_id_x 1
		.amdhsa_system_sgpr_workgroup_id_y 0
		.amdhsa_system_sgpr_workgroup_id_z 0
		.amdhsa_system_sgpr_workgroup_info 0
		.amdhsa_system_vgpr_workitem_id 0
		.amdhsa_next_free_vgpr 51
		.amdhsa_next_free_sgpr 34
		.amdhsa_reserve_vcc 1
		.amdhsa_float_round_mode_32 0
		.amdhsa_float_round_mode_16_64 0
		.amdhsa_float_denorm_mode_32 3
		.amdhsa_float_denorm_mode_16_64 3
		.amdhsa_dx10_clamp 1
		.amdhsa_ieee_mode 1
		.amdhsa_fp16_overflow 0
		.amdhsa_workgroup_processor_mode 1
		.amdhsa_memory_ordered 1
		.amdhsa_forward_progress 0
		.amdhsa_shared_vgpr_count 0
		.amdhsa_exception_fp_ieee_invalid_op 0
		.amdhsa_exception_fp_denorm_src 0
		.amdhsa_exception_fp_ieee_div_zero 0
		.amdhsa_exception_fp_ieee_overflow 0
		.amdhsa_exception_fp_ieee_underflow 0
		.amdhsa_exception_fp_ieee_inexact 0
		.amdhsa_exception_int_div_zero 0
	.end_amdhsa_kernel
	.section	.text._ZN4vllm18act_and_mul_kernelIf15HIP_vector_typeIfLj2EETnPFT_RKS3_EXadL_ZNS_11gelu_kernelIfEES3_S5_EETnPFT0_RKS9_EXadL_ZNS_18packed_gelu_kernelIS2_EES3_S5_EELb1ELb1ELb0ELb1EEEvPS3_PS4_if,"axG",@progbits,_ZN4vllm18act_and_mul_kernelIf15HIP_vector_typeIfLj2EETnPFT_RKS3_EXadL_ZNS_11gelu_kernelIfEES3_S5_EETnPFT0_RKS9_EXadL_ZNS_18packed_gelu_kernelIS2_EES3_S5_EELb1ELb1ELb0ELb1EEEvPS3_PS4_if,comdat
.Lfunc_end29:
	.size	_ZN4vllm18act_and_mul_kernelIf15HIP_vector_typeIfLj2EETnPFT_RKS3_EXadL_ZNS_11gelu_kernelIfEES3_S5_EETnPFT0_RKS9_EXadL_ZNS_18packed_gelu_kernelIS2_EES3_S5_EELb1ELb1ELb0ELb1EEEvPS3_PS4_if, .Lfunc_end29-_ZN4vllm18act_and_mul_kernelIf15HIP_vector_typeIfLj2EETnPFT_RKS3_EXadL_ZNS_11gelu_kernelIfEES3_S5_EETnPFT0_RKS9_EXadL_ZNS_18packed_gelu_kernelIS2_EES3_S5_EELb1ELb1ELb0ELb1EEEvPS3_PS4_if
                                        ; -- End function
	.section	.AMDGPU.csdata,"",@progbits
; Kernel info:
; codeLenInByte = 156
; NumSgprs: 36
; NumVgprs: 51
; ScratchSize: 64
; MemoryBound: 0
; FloatMode: 240
; IeeeMode: 1
; LDSByteSize: 0 bytes/workgroup (compile time only)
; SGPRBlocks: 4
; VGPRBlocks: 6
; NumSGPRsForWavesPerEU: 36
; NumVGPRsForWavesPerEU: 51
; Occupancy: 16
; WaveLimiterHint : 1
; COMPUTE_PGM_RSRC2:SCRATCH_EN: 1
; COMPUTE_PGM_RSRC2:USER_SGPR: 15
; COMPUTE_PGM_RSRC2:TRAP_HANDLER: 0
; COMPUTE_PGM_RSRC2:TGID_X_EN: 1
; COMPUTE_PGM_RSRC2:TGID_Y_EN: 0
; COMPUTE_PGM_RSRC2:TGID_Z_EN: 0
; COMPUTE_PGM_RSRC2:TIDIG_COMP_CNT: 0
	.section	.text._ZN4vllm18act_and_mul_kernelIN3c104HalfE7__half2TnPFT_RKS4_EXadL_ZNS_11gelu_kernelIS2_EES4_S6_EETnPFT0_RKSA_EXadL_ZNS_18packed_gelu_kernelIS3_EES4_S6_EELb1ELb1ELb0ELb1EEEvPS4_PS5_if,"axG",@progbits,_ZN4vllm18act_and_mul_kernelIN3c104HalfE7__half2TnPFT_RKS4_EXadL_ZNS_11gelu_kernelIS2_EES4_S6_EETnPFT0_RKSA_EXadL_ZNS_18packed_gelu_kernelIS3_EES4_S6_EELb1ELb1ELb0ELb1EEEvPS4_PS5_if,comdat
	.protected	_ZN4vllm18act_and_mul_kernelIN3c104HalfE7__half2TnPFT_RKS4_EXadL_ZNS_11gelu_kernelIS2_EES4_S6_EETnPFT0_RKSA_EXadL_ZNS_18packed_gelu_kernelIS3_EES4_S6_EELb1ELb1ELb0ELb1EEEvPS4_PS5_if ; -- Begin function _ZN4vllm18act_and_mul_kernelIN3c104HalfE7__half2TnPFT_RKS4_EXadL_ZNS_11gelu_kernelIS2_EES4_S6_EETnPFT0_RKSA_EXadL_ZNS_18packed_gelu_kernelIS3_EES4_S6_EELb1ELb1ELb0ELb1EEEvPS4_PS5_if
	.globl	_ZN4vllm18act_and_mul_kernelIN3c104HalfE7__half2TnPFT_RKS4_EXadL_ZNS_11gelu_kernelIS2_EES4_S6_EETnPFT0_RKSA_EXadL_ZNS_18packed_gelu_kernelIS3_EES4_S6_EELb1ELb1ELb0ELb1EEEvPS4_PS5_if
	.p2align	8
	.type	_ZN4vllm18act_and_mul_kernelIN3c104HalfE7__half2TnPFT_RKS4_EXadL_ZNS_11gelu_kernelIS2_EES4_S6_EETnPFT0_RKSA_EXadL_ZNS_18packed_gelu_kernelIS3_EES4_S6_EELb1ELb1ELb0ELb1EEEvPS4_PS5_if,@function
_ZN4vllm18act_and_mul_kernelIN3c104HalfE7__half2TnPFT_RKS4_EXadL_ZNS_11gelu_kernelIS2_EES4_S6_EETnPFT0_RKSA_EXadL_ZNS_18packed_gelu_kernelIS3_EES4_S6_EELb1ELb1ELb0ELb1EEEvPS4_PS5_if: ; @_ZN4vllm18act_and_mul_kernelIN3c104HalfE7__half2TnPFT_RKS4_EXadL_ZNS_11gelu_kernelIS2_EES4_S6_EETnPFT0_RKSA_EXadL_ZNS_18packed_gelu_kernelIS3_EES4_S6_EELb1ELb1ELb0ELb1EEEvPS4_PS5_if
; %bb.0:
	s_load_b32 s2, s[0:1], 0x10
	s_mov_b32 s32, 0
	s_waitcnt lgkmcnt(0)
	s_ashr_i32 s3, s2, 31
	s_delay_alu instid0(SALU_CYCLE_1) | instskip(NEXT) | instid1(SALU_CYCLE_1)
	s_lshr_b32 s3, s3, 28
	s_add_i32 s2, s2, s3
	s_delay_alu instid0(SALU_CYCLE_1) | instskip(NEXT) | instid1(SALU_CYCLE_1)
	s_ashr_i32 s2, s2, 4
	v_cmp_gt_i32_e32 vcc_lo, s2, v0
	s_and_saveexec_b32 s2, vcc_lo
	s_cbranch_execz .LBB30_2
; %bb.1:
	s_add_u32 s8, s0, 24
	s_addc_u32 s9, s1, 0
	s_getpc_b64 s[0:1]
	s_add_u32 s0, s0, .str@rel32@lo+4
	s_addc_u32 s1, s1, .str@rel32@hi+12
	s_getpc_b64 s[2:3]
	s_add_u32 s2, s2, __PRETTY_FUNCTION__._ZN4vllm5ld256ERNS_7u32x8_tEPKS0_@rel32@lo+4
	s_addc_u32 s3, s3, __PRETTY_FUNCTION__._ZN4vllm5ld256ERNS_7u32x8_tEPKS0_@rel32@hi+12
	v_dual_mov_b32 v0, s0 :: v_dual_mov_b32 v1, s1
	v_dual_mov_b32 v2, 0x93 :: v_dual_mov_b32 v3, s2
	v_mov_b32_e32 v4, s3
	s_getpc_b64 s[4:5]
	s_add_u32 s4, s4, __assert_fail@rel32@lo+4
	s_addc_u32 s5, s5, __assert_fail@rel32@hi+12
	s_delay_alu instid0(SALU_CYCLE_1)
	s_swappc_b64 s[30:31], s[4:5]
	; divergent unreachable
.LBB30_2:
	s_endpgm
	.section	.rodata,"a",@progbits
	.p2align	6, 0x0
	.amdhsa_kernel _ZN4vllm18act_and_mul_kernelIN3c104HalfE7__half2TnPFT_RKS4_EXadL_ZNS_11gelu_kernelIS2_EES4_S6_EETnPFT0_RKSA_EXadL_ZNS_18packed_gelu_kernelIS3_EES4_S6_EELb1ELb1ELb0ELb1EEEvPS4_PS5_if
		.amdhsa_group_segment_fixed_size 0
		.amdhsa_private_segment_fixed_size 64
		.amdhsa_kernarg_size 280
		.amdhsa_user_sgpr_count 15
		.amdhsa_user_sgpr_dispatch_ptr 0
		.amdhsa_user_sgpr_queue_ptr 0
		.amdhsa_user_sgpr_kernarg_segment_ptr 1
		.amdhsa_user_sgpr_dispatch_id 0
		.amdhsa_user_sgpr_private_segment_size 0
		.amdhsa_wavefront_size32 1
		.amdhsa_uses_dynamic_stack 0
		.amdhsa_enable_private_segment 1
		.amdhsa_system_sgpr_workgroup_id_x 1
		.amdhsa_system_sgpr_workgroup_id_y 0
		.amdhsa_system_sgpr_workgroup_id_z 0
		.amdhsa_system_sgpr_workgroup_info 0
		.amdhsa_system_vgpr_workitem_id 0
		.amdhsa_next_free_vgpr 51
		.amdhsa_next_free_sgpr 34
		.amdhsa_reserve_vcc 1
		.amdhsa_float_round_mode_32 0
		.amdhsa_float_round_mode_16_64 0
		.amdhsa_float_denorm_mode_32 3
		.amdhsa_float_denorm_mode_16_64 3
		.amdhsa_dx10_clamp 1
		.amdhsa_ieee_mode 1
		.amdhsa_fp16_overflow 0
		.amdhsa_workgroup_processor_mode 1
		.amdhsa_memory_ordered 1
		.amdhsa_forward_progress 0
		.amdhsa_shared_vgpr_count 0
		.amdhsa_exception_fp_ieee_invalid_op 0
		.amdhsa_exception_fp_denorm_src 0
		.amdhsa_exception_fp_ieee_div_zero 0
		.amdhsa_exception_fp_ieee_overflow 0
		.amdhsa_exception_fp_ieee_underflow 0
		.amdhsa_exception_fp_ieee_inexact 0
		.amdhsa_exception_int_div_zero 0
	.end_amdhsa_kernel
	.section	.text._ZN4vllm18act_and_mul_kernelIN3c104HalfE7__half2TnPFT_RKS4_EXadL_ZNS_11gelu_kernelIS2_EES4_S6_EETnPFT0_RKSA_EXadL_ZNS_18packed_gelu_kernelIS3_EES4_S6_EELb1ELb1ELb0ELb1EEEvPS4_PS5_if,"axG",@progbits,_ZN4vllm18act_and_mul_kernelIN3c104HalfE7__half2TnPFT_RKS4_EXadL_ZNS_11gelu_kernelIS2_EES4_S6_EETnPFT0_RKSA_EXadL_ZNS_18packed_gelu_kernelIS3_EES4_S6_EELb1ELb1ELb0ELb1EEEvPS4_PS5_if,comdat
.Lfunc_end30:
	.size	_ZN4vllm18act_and_mul_kernelIN3c104HalfE7__half2TnPFT_RKS4_EXadL_ZNS_11gelu_kernelIS2_EES4_S6_EETnPFT0_RKSA_EXadL_ZNS_18packed_gelu_kernelIS3_EES4_S6_EELb1ELb1ELb0ELb1EEEvPS4_PS5_if, .Lfunc_end30-_ZN4vllm18act_and_mul_kernelIN3c104HalfE7__half2TnPFT_RKS4_EXadL_ZNS_11gelu_kernelIS2_EES4_S6_EETnPFT0_RKSA_EXadL_ZNS_18packed_gelu_kernelIS3_EES4_S6_EELb1ELb1ELb0ELb1EEEvPS4_PS5_if
                                        ; -- End function
	.section	.AMDGPU.csdata,"",@progbits
; Kernel info:
; codeLenInByte = 156
; NumSgprs: 36
; NumVgprs: 51
; ScratchSize: 64
; MemoryBound: 0
; FloatMode: 240
; IeeeMode: 1
; LDSByteSize: 0 bytes/workgroup (compile time only)
; SGPRBlocks: 4
; VGPRBlocks: 6
; NumSGPRsForWavesPerEU: 36
; NumVGPRsForWavesPerEU: 51
; Occupancy: 16
; WaveLimiterHint : 1
; COMPUTE_PGM_RSRC2:SCRATCH_EN: 1
; COMPUTE_PGM_RSRC2:USER_SGPR: 15
; COMPUTE_PGM_RSRC2:TRAP_HANDLER: 0
; COMPUTE_PGM_RSRC2:TGID_X_EN: 1
; COMPUTE_PGM_RSRC2:TGID_Y_EN: 0
; COMPUTE_PGM_RSRC2:TGID_Z_EN: 0
; COMPUTE_PGM_RSRC2:TIDIG_COMP_CNT: 0
	.section	.text._ZN4vllm18act_and_mul_kernelIN3c108BFloat16E15__hip_bfloat162TnPFT_RKS4_EXadL_ZNS_11gelu_kernelIS2_EES4_S6_EETnPFT0_RKSA_EXadL_ZNS_18packed_gelu_kernelIS3_EES4_S6_EELb1ELb1ELb0ELb1EEEvPS4_PS5_if,"axG",@progbits,_ZN4vllm18act_and_mul_kernelIN3c108BFloat16E15__hip_bfloat162TnPFT_RKS4_EXadL_ZNS_11gelu_kernelIS2_EES4_S6_EETnPFT0_RKSA_EXadL_ZNS_18packed_gelu_kernelIS3_EES4_S6_EELb1ELb1ELb0ELb1EEEvPS4_PS5_if,comdat
	.protected	_ZN4vllm18act_and_mul_kernelIN3c108BFloat16E15__hip_bfloat162TnPFT_RKS4_EXadL_ZNS_11gelu_kernelIS2_EES4_S6_EETnPFT0_RKSA_EXadL_ZNS_18packed_gelu_kernelIS3_EES4_S6_EELb1ELb1ELb0ELb1EEEvPS4_PS5_if ; -- Begin function _ZN4vllm18act_and_mul_kernelIN3c108BFloat16E15__hip_bfloat162TnPFT_RKS4_EXadL_ZNS_11gelu_kernelIS2_EES4_S6_EETnPFT0_RKSA_EXadL_ZNS_18packed_gelu_kernelIS3_EES4_S6_EELb1ELb1ELb0ELb1EEEvPS4_PS5_if
	.globl	_ZN4vllm18act_and_mul_kernelIN3c108BFloat16E15__hip_bfloat162TnPFT_RKS4_EXadL_ZNS_11gelu_kernelIS2_EES4_S6_EETnPFT0_RKSA_EXadL_ZNS_18packed_gelu_kernelIS3_EES4_S6_EELb1ELb1ELb0ELb1EEEvPS4_PS5_if
	.p2align	8
	.type	_ZN4vllm18act_and_mul_kernelIN3c108BFloat16E15__hip_bfloat162TnPFT_RKS4_EXadL_ZNS_11gelu_kernelIS2_EES4_S6_EETnPFT0_RKSA_EXadL_ZNS_18packed_gelu_kernelIS3_EES4_S6_EELb1ELb1ELb0ELb1EEEvPS4_PS5_if,@function
_ZN4vllm18act_and_mul_kernelIN3c108BFloat16E15__hip_bfloat162TnPFT_RKS4_EXadL_ZNS_11gelu_kernelIS2_EES4_S6_EETnPFT0_RKSA_EXadL_ZNS_18packed_gelu_kernelIS3_EES4_S6_EELb1ELb1ELb0ELb1EEEvPS4_PS5_if: ; @_ZN4vllm18act_and_mul_kernelIN3c108BFloat16E15__hip_bfloat162TnPFT_RKS4_EXadL_ZNS_11gelu_kernelIS2_EES4_S6_EETnPFT0_RKSA_EXadL_ZNS_18packed_gelu_kernelIS3_EES4_S6_EELb1ELb1ELb0ELb1EEEvPS4_PS5_if
; %bb.0:
	s_load_b32 s2, s[0:1], 0x10
	s_mov_b32 s32, 0
	s_waitcnt lgkmcnt(0)
	s_ashr_i32 s3, s2, 31
	s_delay_alu instid0(SALU_CYCLE_1) | instskip(NEXT) | instid1(SALU_CYCLE_1)
	s_lshr_b32 s3, s3, 28
	s_add_i32 s2, s2, s3
	s_delay_alu instid0(SALU_CYCLE_1) | instskip(NEXT) | instid1(SALU_CYCLE_1)
	s_ashr_i32 s2, s2, 4
	v_cmp_gt_i32_e32 vcc_lo, s2, v0
	s_and_saveexec_b32 s2, vcc_lo
	s_cbranch_execz .LBB31_2
; %bb.1:
	s_add_u32 s8, s0, 24
	s_addc_u32 s9, s1, 0
	s_getpc_b64 s[0:1]
	s_add_u32 s0, s0, .str@rel32@lo+4
	s_addc_u32 s1, s1, .str@rel32@hi+12
	s_getpc_b64 s[2:3]
	s_add_u32 s2, s2, __PRETTY_FUNCTION__._ZN4vllm5ld256ERNS_7u32x8_tEPKS0_@rel32@lo+4
	s_addc_u32 s3, s3, __PRETTY_FUNCTION__._ZN4vllm5ld256ERNS_7u32x8_tEPKS0_@rel32@hi+12
	v_dual_mov_b32 v0, s0 :: v_dual_mov_b32 v1, s1
	v_dual_mov_b32 v2, 0x93 :: v_dual_mov_b32 v3, s2
	v_mov_b32_e32 v4, s3
	s_getpc_b64 s[4:5]
	s_add_u32 s4, s4, __assert_fail@rel32@lo+4
	s_addc_u32 s5, s5, __assert_fail@rel32@hi+12
	s_delay_alu instid0(SALU_CYCLE_1)
	s_swappc_b64 s[30:31], s[4:5]
	; divergent unreachable
.LBB31_2:
	s_endpgm
	.section	.rodata,"a",@progbits
	.p2align	6, 0x0
	.amdhsa_kernel _ZN4vllm18act_and_mul_kernelIN3c108BFloat16E15__hip_bfloat162TnPFT_RKS4_EXadL_ZNS_11gelu_kernelIS2_EES4_S6_EETnPFT0_RKSA_EXadL_ZNS_18packed_gelu_kernelIS3_EES4_S6_EELb1ELb1ELb0ELb1EEEvPS4_PS5_if
		.amdhsa_group_segment_fixed_size 0
		.amdhsa_private_segment_fixed_size 64
		.amdhsa_kernarg_size 280
		.amdhsa_user_sgpr_count 15
		.amdhsa_user_sgpr_dispatch_ptr 0
		.amdhsa_user_sgpr_queue_ptr 0
		.amdhsa_user_sgpr_kernarg_segment_ptr 1
		.amdhsa_user_sgpr_dispatch_id 0
		.amdhsa_user_sgpr_private_segment_size 0
		.amdhsa_wavefront_size32 1
		.amdhsa_uses_dynamic_stack 0
		.amdhsa_enable_private_segment 1
		.amdhsa_system_sgpr_workgroup_id_x 1
		.amdhsa_system_sgpr_workgroup_id_y 0
		.amdhsa_system_sgpr_workgroup_id_z 0
		.amdhsa_system_sgpr_workgroup_info 0
		.amdhsa_system_vgpr_workitem_id 0
		.amdhsa_next_free_vgpr 51
		.amdhsa_next_free_sgpr 34
		.amdhsa_reserve_vcc 1
		.amdhsa_float_round_mode_32 0
		.amdhsa_float_round_mode_16_64 0
		.amdhsa_float_denorm_mode_32 3
		.amdhsa_float_denorm_mode_16_64 3
		.amdhsa_dx10_clamp 1
		.amdhsa_ieee_mode 1
		.amdhsa_fp16_overflow 0
		.amdhsa_workgroup_processor_mode 1
		.amdhsa_memory_ordered 1
		.amdhsa_forward_progress 0
		.amdhsa_shared_vgpr_count 0
		.amdhsa_exception_fp_ieee_invalid_op 0
		.amdhsa_exception_fp_denorm_src 0
		.amdhsa_exception_fp_ieee_div_zero 0
		.amdhsa_exception_fp_ieee_overflow 0
		.amdhsa_exception_fp_ieee_underflow 0
		.amdhsa_exception_fp_ieee_inexact 0
		.amdhsa_exception_int_div_zero 0
	.end_amdhsa_kernel
	.section	.text._ZN4vllm18act_and_mul_kernelIN3c108BFloat16E15__hip_bfloat162TnPFT_RKS4_EXadL_ZNS_11gelu_kernelIS2_EES4_S6_EETnPFT0_RKSA_EXadL_ZNS_18packed_gelu_kernelIS3_EES4_S6_EELb1ELb1ELb0ELb1EEEvPS4_PS5_if,"axG",@progbits,_ZN4vllm18act_and_mul_kernelIN3c108BFloat16E15__hip_bfloat162TnPFT_RKS4_EXadL_ZNS_11gelu_kernelIS2_EES4_S6_EETnPFT0_RKSA_EXadL_ZNS_18packed_gelu_kernelIS3_EES4_S6_EELb1ELb1ELb0ELb1EEEvPS4_PS5_if,comdat
.Lfunc_end31:
	.size	_ZN4vllm18act_and_mul_kernelIN3c108BFloat16E15__hip_bfloat162TnPFT_RKS4_EXadL_ZNS_11gelu_kernelIS2_EES4_S6_EETnPFT0_RKSA_EXadL_ZNS_18packed_gelu_kernelIS3_EES4_S6_EELb1ELb1ELb0ELb1EEEvPS4_PS5_if, .Lfunc_end31-_ZN4vllm18act_and_mul_kernelIN3c108BFloat16E15__hip_bfloat162TnPFT_RKS4_EXadL_ZNS_11gelu_kernelIS2_EES4_S6_EETnPFT0_RKSA_EXadL_ZNS_18packed_gelu_kernelIS3_EES4_S6_EELb1ELb1ELb0ELb1EEEvPS4_PS5_if
                                        ; -- End function
	.section	.AMDGPU.csdata,"",@progbits
; Kernel info:
; codeLenInByte = 156
; NumSgprs: 36
; NumVgprs: 51
; ScratchSize: 64
; MemoryBound: 0
; FloatMode: 240
; IeeeMode: 1
; LDSByteSize: 0 bytes/workgroup (compile time only)
; SGPRBlocks: 4
; VGPRBlocks: 6
; NumSGPRsForWavesPerEU: 36
; NumVGPRsForWavesPerEU: 51
; Occupancy: 16
; WaveLimiterHint : 1
; COMPUTE_PGM_RSRC2:SCRATCH_EN: 1
; COMPUTE_PGM_RSRC2:USER_SGPR: 15
; COMPUTE_PGM_RSRC2:TRAP_HANDLER: 0
; COMPUTE_PGM_RSRC2:TGID_X_EN: 1
; COMPUTE_PGM_RSRC2:TGID_Y_EN: 0
; COMPUTE_PGM_RSRC2:TGID_Z_EN: 0
; COMPUTE_PGM_RSRC2:TIDIG_COMP_CNT: 0
	.section	.text._ZN4vllm18act_and_mul_kernelIf15HIP_vector_typeIfLj2EETnPFT_RKS3_EXadL_ZNS_11gelu_kernelIfEES3_S5_EETnPFT0_RKS9_EXadL_ZNS_18packed_gelu_kernelIS2_EES3_S5_EELb1ELb1ELb0ELb0EEEvPS3_PS4_if,"axG",@progbits,_ZN4vllm18act_and_mul_kernelIf15HIP_vector_typeIfLj2EETnPFT_RKS3_EXadL_ZNS_11gelu_kernelIfEES3_S5_EETnPFT0_RKS9_EXadL_ZNS_18packed_gelu_kernelIS2_EES3_S5_EELb1ELb1ELb0ELb0EEEvPS3_PS4_if,comdat
	.protected	_ZN4vllm18act_and_mul_kernelIf15HIP_vector_typeIfLj2EETnPFT_RKS3_EXadL_ZNS_11gelu_kernelIfEES3_S5_EETnPFT0_RKS9_EXadL_ZNS_18packed_gelu_kernelIS2_EES3_S5_EELb1ELb1ELb0ELb0EEEvPS3_PS4_if ; -- Begin function _ZN4vllm18act_and_mul_kernelIf15HIP_vector_typeIfLj2EETnPFT_RKS3_EXadL_ZNS_11gelu_kernelIfEES3_S5_EETnPFT0_RKS9_EXadL_ZNS_18packed_gelu_kernelIS2_EES3_S5_EELb1ELb1ELb0ELb0EEEvPS3_PS4_if
	.globl	_ZN4vllm18act_and_mul_kernelIf15HIP_vector_typeIfLj2EETnPFT_RKS3_EXadL_ZNS_11gelu_kernelIfEES3_S5_EETnPFT0_RKS9_EXadL_ZNS_18packed_gelu_kernelIS2_EES3_S5_EELb1ELb1ELb0ELb0EEEvPS3_PS4_if
	.p2align	8
	.type	_ZN4vllm18act_and_mul_kernelIf15HIP_vector_typeIfLj2EETnPFT_RKS3_EXadL_ZNS_11gelu_kernelIfEES3_S5_EETnPFT0_RKS9_EXadL_ZNS_18packed_gelu_kernelIS2_EES3_S5_EELb1ELb1ELb0ELb0EEEvPS3_PS4_if,@function
_ZN4vllm18act_and_mul_kernelIf15HIP_vector_typeIfLj2EETnPFT_RKS3_EXadL_ZNS_11gelu_kernelIfEES3_S5_EETnPFT0_RKS9_EXadL_ZNS_18packed_gelu_kernelIS2_EES3_S5_EELb1ELb1ELb0ELb0EEEvPS3_PS4_if: ; @_ZN4vllm18act_and_mul_kernelIf15HIP_vector_typeIfLj2EETnPFT_RKS3_EXadL_ZNS_11gelu_kernelIfEES3_S5_EETnPFT0_RKS9_EXadL_ZNS_18packed_gelu_kernelIS2_EES3_S5_EELb1ELb1ELb0ELb0EEEvPS3_PS4_if
; %bb.0:
	s_load_b32 s2, s[0:1], 0x10
	s_mov_b32 s5, exec_lo
	s_waitcnt lgkmcnt(0)
	s_ashr_i32 s3, s2, 31
	s_delay_alu instid0(SALU_CYCLE_1) | instskip(NEXT) | instid1(SALU_CYCLE_1)
	s_lshr_b32 s4, s3, 30
	s_add_i32 s4, s2, s4
	s_delay_alu instid0(SALU_CYCLE_1) | instskip(NEXT) | instid1(SALU_CYCLE_1)
	s_ashr_i32 s4, s4, 2
	v_cmpx_gt_i32_e64 s4, v0
	s_cbranch_execz .LBB32_19
; %bb.1:
	s_clause 0x1
	s_load_b32 s5, s[0:1], 0x24
	s_load_b128 s[8:11], s[0:1], 0x0
	s_mul_i32 s12, s15, s2
	s_mov_b32 s1, 0
	s_lshl_b32 s0, s12, 1
	v_lshlrev_b32_e32 v1, 4, v0
	s_lshl_b64 s[6:7], s[0:1], 2
	s_mov_b32 s13, s1
	s_waitcnt lgkmcnt(0)
	s_and_b32 s5, s5, 0xffff
	s_add_u32 s0, s10, s6
	s_addc_u32 s7, s11, s7
	v_add_co_u32 v9, s0, s0, v1
	s_lshl_b64 s[10:11], s[12:13], 2
	s_lshl_b32 s6, s5, 4
	s_lshl_b64 s[2:3], s[2:3], 2
	v_add_co_ci_u32_e64 v10, null, s7, 0, s0
	s_add_u32 s0, s8, s10
	s_addc_u32 s7, s9, s11
	v_add_co_u32 v11, vcc_lo, v9, s2
	v_add_co_u32 v13, s0, s0, v1
	v_add_co_ci_u32_e32 v12, vcc_lo, s3, v10, vcc_lo
	v_add_co_ci_u32_e64 v14, null, s7, 0, s0
	s_mov_b64 s[2:3], 0
	s_mov_b32 s7, 0x378e98ab
	s_mov_b32 s8, 0xba1345e1
	s_branch .LBB32_3
.LBB32_2:                               ;   in Loop: Header=BB32_3 Depth=1
	s_or_b32 exec_lo, exec_lo, s0
	v_bfi_b32 v15, 0x7fffffff, v16, v15
	v_bfi_b32 v16, 0x7fffffff, v18, v17
	;; [unrolled: 1-line block ×4, first 2 shown]
	v_dual_mul_f32 v6, 0.5, v6 :: v_dual_mul_f32 v5, 0.5, v5
	s_delay_alu instid0(VALU_DEP_4) | instskip(SKIP_1) | instid1(VALU_DEP_4)
	v_dual_add_f32 v15, 1.0, v15 :: v_dual_add_f32 v16, 1.0, v16
	v_dual_mul_f32 v8, 0.5, v8 :: v_dual_mul_f32 v7, 0.5, v7
	v_dual_add_f32 v17, 1.0, v17 :: v_dual_add_f32 v18, 1.0, v18
	s_delay_alu instid0(VALU_DEP_3) | instskip(NEXT) | instid1(VALU_DEP_2)
	v_dual_mul_f32 v5, v5, v15 :: v_dual_mul_f32 v6, v6, v16
	v_dual_mul_f32 v7, v7, v17 :: v_dual_add_nc_u32 v0, s5, v0
	s_waitcnt vmcnt(0)
	s_delay_alu instid0(VALU_DEP_2) | instskip(SKIP_1) | instid1(VALU_DEP_3)
	v_dual_mul_f32 v8, v8, v18 :: v_dual_mul_f32 v1, v5, v1
	v_add_co_u32 v5, s0, v13, s2
	v_cmp_le_i32_e32 vcc_lo, s4, v0
	v_dual_mul_f32 v2, v6, v2 :: v_dual_mul_f32 v3, v7, v3
	s_delay_alu instid0(VALU_DEP_4)
	v_mul_f32_e32 v4, v8, v4
	v_add_co_ci_u32_e64 v6, s0, s3, v14, s0
	s_add_u32 s2, s2, s6
	s_addc_u32 s3, s3, 0
	s_or_b32 s1, vcc_lo, s1
	global_store_b128 v[5:6], v[1:4], off
	s_and_not1_b32 exec_lo, exec_lo, s1
	s_cbranch_execz .LBB32_19
.LBB32_3:                               ; =>This Inner Loop Header: Depth=1
	v_add_co_u32 v1, vcc_lo, v9, s2
	v_add_co_ci_u32_e32 v2, vcc_lo, s3, v10, vcc_lo
                                        ; implicit-def: $vgpr16
	global_load_b128 v[5:8], v[1:2], off
	v_add_co_u32 v1, vcc_lo, v11, s2
	v_add_co_ci_u32_e32 v2, vcc_lo, s3, v12, vcc_lo
	global_load_b128 v[1:4], v[1:2], off
	s_waitcnt vmcnt(1)
	v_mul_f32_e32 v15, 0x3f3504f3, v5
	s_delay_alu instid0(VALU_DEP_1) | instskip(NEXT) | instid1(VALU_DEP_1)
	v_cmp_nlt_f32_e64 s0, |v15|, 1.0
	s_and_saveexec_b32 s9, s0
	s_delay_alu instid0(SALU_CYCLE_1)
	s_xor_b32 s0, exec_lo, s9
	s_cbranch_execz .LBB32_5
; %bb.4:                                ;   in Loop: Header=BB32_3 Depth=1
	v_fma_f32 v16, |v15|, s7, 0xb9c68948
	s_delay_alu instid0(VALU_DEP_1) | instskip(NEXT) | instid1(VALU_DEP_1)
	v_fma_f32 v16, |v15|, v16, 0x3b7cd369
	v_fma_f32 v16, |v15|, v16, 0xbcc618b2
	s_delay_alu instid0(VALU_DEP_1) | instskip(NEXT) | instid1(VALU_DEP_1)
	v_fma_f32 v16, |v15|, v16, 0x3dda74e4
	;; [unrolled: 3-line block ×3, first 2 shown]
	v_fma_f32 v16, |v15|, v16, |v15|
	s_delay_alu instid0(VALU_DEP_1) | instskip(SKIP_1) | instid1(VALU_DEP_2)
	v_mul_f32_e32 v17, 0xbfb8aa3b, v16
	v_cmp_nlt_f32_e32 vcc_lo, 0x42ce8ed0, v16
	v_fma_f32 v18, 0xbfb8aa3b, v16, -v17
	v_rndne_f32_e32 v19, v17
	s_delay_alu instid0(VALU_DEP_1) | instskip(NEXT) | instid1(VALU_DEP_1)
	v_dual_fmac_f32 v18, 0xb2a5705f, v16 :: v_dual_sub_f32 v17, v17, v19
	v_add_f32_e32 v17, v17, v18
	v_cvt_i32_f32_e32 v18, v19
	s_delay_alu instid0(VALU_DEP_2) | instskip(SKIP_2) | instid1(VALU_DEP_1)
	v_exp_f32_e32 v17, v17
	s_waitcnt_depctr 0xfff
	v_ldexp_f32 v17, v17, v18
	v_cndmask_b32_e32 v17, 0, v17, vcc_lo
	v_cmp_ngt_f32_e32 vcc_lo, 0xc2b17218, v16
	s_delay_alu instid0(VALU_DEP_2) | instskip(NEXT) | instid1(VALU_DEP_1)
	v_cndmask_b32_e32 v16, 0x7f800000, v17, vcc_lo
	v_sub_f32_e32 v16, 1.0, v16
.LBB32_5:                               ;   in Loop: Header=BB32_3 Depth=1
	s_and_not1_saveexec_b32 s0, s0
; %bb.6:                                ;   in Loop: Header=BB32_3 Depth=1
	v_mul_f32_e32 v16, v15, v15
	s_delay_alu instid0(VALU_DEP_1) | instskip(NEXT) | instid1(VALU_DEP_1)
	v_fmaak_f32 v17, s8, v16, 0x3ba10414
	v_fmaak_f32 v17, v16, v17, 0xbcdac9b8
	s_delay_alu instid0(VALU_DEP_1) | instskip(NEXT) | instid1(VALU_DEP_1)
	v_fmaak_f32 v17, v16, v17, 0x3de703be
	v_fmaak_f32 v17, v16, v17, 0xbec09330
	s_delay_alu instid0(VALU_DEP_1) | instskip(NEXT) | instid1(VALU_DEP_1)
	v_fmaak_f32 v16, v16, v17, 0x3e0375d0
	v_fma_f32 v16, |v15|, v16, |v15|
; %bb.7:                                ;   in Loop: Header=BB32_3 Depth=1
	s_or_b32 exec_lo, exec_lo, s0
	v_mul_f32_e32 v17, 0x3f3504f3, v6
                                        ; implicit-def: $vgpr18
	s_delay_alu instid0(VALU_DEP_1) | instskip(NEXT) | instid1(VALU_DEP_1)
	v_cmp_nlt_f32_e64 s0, |v17|, 1.0
	s_and_saveexec_b32 s9, s0
	s_delay_alu instid0(SALU_CYCLE_1)
	s_xor_b32 s0, exec_lo, s9
	s_cbranch_execz .LBB32_9
; %bb.8:                                ;   in Loop: Header=BB32_3 Depth=1
	v_fma_f32 v18, |v17|, s7, 0xb9c68948
	s_delay_alu instid0(VALU_DEP_1) | instskip(NEXT) | instid1(VALU_DEP_1)
	v_fma_f32 v18, |v17|, v18, 0x3b7cd369
	v_fma_f32 v18, |v17|, v18, 0xbcc618b2
	s_delay_alu instid0(VALU_DEP_1) | instskip(NEXT) | instid1(VALU_DEP_1)
	v_fma_f32 v18, |v17|, v18, 0x3dda74e4
	;; [unrolled: 3-line block ×3, first 2 shown]
	v_fma_f32 v18, |v17|, v18, |v17|
	s_delay_alu instid0(VALU_DEP_1) | instskip(SKIP_1) | instid1(VALU_DEP_2)
	v_mul_f32_e32 v19, 0xbfb8aa3b, v18
	v_cmp_nlt_f32_e32 vcc_lo, 0x42ce8ed0, v18
	v_fma_f32 v20, 0xbfb8aa3b, v18, -v19
	v_rndne_f32_e32 v21, v19
	s_delay_alu instid0(VALU_DEP_1) | instskip(NEXT) | instid1(VALU_DEP_1)
	v_dual_fmac_f32 v20, 0xb2a5705f, v18 :: v_dual_sub_f32 v19, v19, v21
	v_add_f32_e32 v19, v19, v20
	v_cvt_i32_f32_e32 v20, v21
	s_delay_alu instid0(VALU_DEP_2) | instskip(SKIP_2) | instid1(VALU_DEP_1)
	v_exp_f32_e32 v19, v19
	s_waitcnt_depctr 0xfff
	v_ldexp_f32 v19, v19, v20
	v_cndmask_b32_e32 v19, 0, v19, vcc_lo
	v_cmp_ngt_f32_e32 vcc_lo, 0xc2b17218, v18
	s_delay_alu instid0(VALU_DEP_2) | instskip(NEXT) | instid1(VALU_DEP_1)
	v_cndmask_b32_e32 v18, 0x7f800000, v19, vcc_lo
	v_sub_f32_e32 v18, 1.0, v18
.LBB32_9:                               ;   in Loop: Header=BB32_3 Depth=1
	s_and_not1_saveexec_b32 s0, s0
; %bb.10:                               ;   in Loop: Header=BB32_3 Depth=1
	v_mul_f32_e32 v18, v17, v17
	s_delay_alu instid0(VALU_DEP_1) | instskip(NEXT) | instid1(VALU_DEP_1)
	v_fmaak_f32 v19, s8, v18, 0x3ba10414
	v_fmaak_f32 v19, v18, v19, 0xbcdac9b8
	s_delay_alu instid0(VALU_DEP_1) | instskip(NEXT) | instid1(VALU_DEP_1)
	v_fmaak_f32 v19, v18, v19, 0x3de703be
	v_fmaak_f32 v19, v18, v19, 0xbec09330
	s_delay_alu instid0(VALU_DEP_1) | instskip(NEXT) | instid1(VALU_DEP_1)
	v_fmaak_f32 v18, v18, v19, 0x3e0375d0
	v_fma_f32 v18, |v17|, v18, |v17|
; %bb.11:                               ;   in Loop: Header=BB32_3 Depth=1
	s_or_b32 exec_lo, exec_lo, s0
	v_mul_f32_e32 v19, 0x3f3504f3, v7
                                        ; implicit-def: $vgpr20
	s_delay_alu instid0(VALU_DEP_1) | instskip(NEXT) | instid1(VALU_DEP_1)
	v_cmp_nlt_f32_e64 s0, |v19|, 1.0
	s_and_saveexec_b32 s9, s0
	s_delay_alu instid0(SALU_CYCLE_1)
	s_xor_b32 s0, exec_lo, s9
	s_cbranch_execz .LBB32_13
; %bb.12:                               ;   in Loop: Header=BB32_3 Depth=1
	v_fma_f32 v20, |v19|, s7, 0xb9c68948
	s_delay_alu instid0(VALU_DEP_1) | instskip(NEXT) | instid1(VALU_DEP_1)
	v_fma_f32 v20, |v19|, v20, 0x3b7cd369
	v_fma_f32 v20, |v19|, v20, 0xbcc618b2
	s_delay_alu instid0(VALU_DEP_1) | instskip(NEXT) | instid1(VALU_DEP_1)
	v_fma_f32 v20, |v19|, v20, 0x3dda74e4
	;; [unrolled: 3-line block ×3, first 2 shown]
	v_fma_f32 v20, |v19|, v20, |v19|
	s_delay_alu instid0(VALU_DEP_1) | instskip(SKIP_1) | instid1(VALU_DEP_2)
	v_mul_f32_e32 v21, 0xbfb8aa3b, v20
	v_cmp_nlt_f32_e32 vcc_lo, 0x42ce8ed0, v20
	v_fma_f32 v22, 0xbfb8aa3b, v20, -v21
	v_rndne_f32_e32 v23, v21
	s_delay_alu instid0(VALU_DEP_1) | instskip(NEXT) | instid1(VALU_DEP_1)
	v_dual_fmac_f32 v22, 0xb2a5705f, v20 :: v_dual_sub_f32 v21, v21, v23
	v_add_f32_e32 v21, v21, v22
	v_cvt_i32_f32_e32 v22, v23
	s_delay_alu instid0(VALU_DEP_2) | instskip(SKIP_2) | instid1(VALU_DEP_1)
	v_exp_f32_e32 v21, v21
	s_waitcnt_depctr 0xfff
	v_ldexp_f32 v21, v21, v22
	v_cndmask_b32_e32 v21, 0, v21, vcc_lo
	v_cmp_ngt_f32_e32 vcc_lo, 0xc2b17218, v20
	s_delay_alu instid0(VALU_DEP_2) | instskip(NEXT) | instid1(VALU_DEP_1)
	v_cndmask_b32_e32 v20, 0x7f800000, v21, vcc_lo
	v_sub_f32_e32 v20, 1.0, v20
.LBB32_13:                              ;   in Loop: Header=BB32_3 Depth=1
	s_and_not1_saveexec_b32 s0, s0
; %bb.14:                               ;   in Loop: Header=BB32_3 Depth=1
	v_mul_f32_e32 v20, v19, v19
	s_delay_alu instid0(VALU_DEP_1) | instskip(NEXT) | instid1(VALU_DEP_1)
	v_fmaak_f32 v21, s8, v20, 0x3ba10414
	v_fmaak_f32 v21, v20, v21, 0xbcdac9b8
	s_delay_alu instid0(VALU_DEP_1) | instskip(NEXT) | instid1(VALU_DEP_1)
	v_fmaak_f32 v21, v20, v21, 0x3de703be
	v_fmaak_f32 v21, v20, v21, 0xbec09330
	s_delay_alu instid0(VALU_DEP_1) | instskip(NEXT) | instid1(VALU_DEP_1)
	v_fmaak_f32 v20, v20, v21, 0x3e0375d0
	v_fma_f32 v20, |v19|, v20, |v19|
; %bb.15:                               ;   in Loop: Header=BB32_3 Depth=1
	s_or_b32 exec_lo, exec_lo, s0
	v_mul_f32_e32 v21, 0x3f3504f3, v8
                                        ; implicit-def: $vgpr22
	s_delay_alu instid0(VALU_DEP_1) | instskip(NEXT) | instid1(VALU_DEP_1)
	v_cmp_nlt_f32_e64 s0, |v21|, 1.0
	s_and_saveexec_b32 s9, s0
	s_delay_alu instid0(SALU_CYCLE_1)
	s_xor_b32 s0, exec_lo, s9
	s_cbranch_execz .LBB32_17
; %bb.16:                               ;   in Loop: Header=BB32_3 Depth=1
	v_fma_f32 v22, |v21|, s7, 0xb9c68948
	s_delay_alu instid0(VALU_DEP_1) | instskip(NEXT) | instid1(VALU_DEP_1)
	v_fma_f32 v22, |v21|, v22, 0x3b7cd369
	v_fma_f32 v22, |v21|, v22, 0xbcc618b2
	s_delay_alu instid0(VALU_DEP_1) | instskip(NEXT) | instid1(VALU_DEP_1)
	v_fma_f32 v22, |v21|, v22, 0x3dda74e4
	;; [unrolled: 3-line block ×3, first 2 shown]
	v_fma_f32 v22, |v21|, v22, |v21|
	s_delay_alu instid0(VALU_DEP_1) | instskip(SKIP_1) | instid1(VALU_DEP_2)
	v_mul_f32_e32 v23, 0xbfb8aa3b, v22
	v_cmp_nlt_f32_e32 vcc_lo, 0x42ce8ed0, v22
	v_fma_f32 v24, 0xbfb8aa3b, v22, -v23
	v_rndne_f32_e32 v25, v23
	s_delay_alu instid0(VALU_DEP_1) | instskip(NEXT) | instid1(VALU_DEP_1)
	v_dual_fmac_f32 v24, 0xb2a5705f, v22 :: v_dual_sub_f32 v23, v23, v25
	v_add_f32_e32 v23, v23, v24
	v_cvt_i32_f32_e32 v24, v25
	s_delay_alu instid0(VALU_DEP_2) | instskip(SKIP_2) | instid1(VALU_DEP_1)
	v_exp_f32_e32 v23, v23
	s_waitcnt_depctr 0xfff
	v_ldexp_f32 v23, v23, v24
	v_cndmask_b32_e32 v23, 0, v23, vcc_lo
	v_cmp_ngt_f32_e32 vcc_lo, 0xc2b17218, v22
	s_delay_alu instid0(VALU_DEP_2) | instskip(NEXT) | instid1(VALU_DEP_1)
	v_cndmask_b32_e32 v22, 0x7f800000, v23, vcc_lo
	v_sub_f32_e32 v22, 1.0, v22
.LBB32_17:                              ;   in Loop: Header=BB32_3 Depth=1
	s_and_not1_saveexec_b32 s0, s0
	s_cbranch_execz .LBB32_2
; %bb.18:                               ;   in Loop: Header=BB32_3 Depth=1
	v_mul_f32_e32 v22, v21, v21
	s_delay_alu instid0(VALU_DEP_1) | instskip(NEXT) | instid1(VALU_DEP_1)
	v_fmaak_f32 v23, s8, v22, 0x3ba10414
	v_fmaak_f32 v23, v22, v23, 0xbcdac9b8
	s_delay_alu instid0(VALU_DEP_1) | instskip(NEXT) | instid1(VALU_DEP_1)
	v_fmaak_f32 v23, v22, v23, 0x3de703be
	v_fmaak_f32 v23, v22, v23, 0xbec09330
	s_delay_alu instid0(VALU_DEP_1) | instskip(NEXT) | instid1(VALU_DEP_1)
	v_fmaak_f32 v22, v22, v23, 0x3e0375d0
	v_fma_f32 v22, |v21|, v22, |v21|
	s_branch .LBB32_2
.LBB32_19:
	s_nop 0
	s_sendmsg sendmsg(MSG_DEALLOC_VGPRS)
	s_endpgm
	.section	.rodata,"a",@progbits
	.p2align	6, 0x0
	.amdhsa_kernel _ZN4vllm18act_and_mul_kernelIf15HIP_vector_typeIfLj2EETnPFT_RKS3_EXadL_ZNS_11gelu_kernelIfEES3_S5_EETnPFT0_RKS9_EXadL_ZNS_18packed_gelu_kernelIS2_EES3_S5_EELb1ELb1ELb0ELb0EEEvPS3_PS4_if
		.amdhsa_group_segment_fixed_size 0
		.amdhsa_private_segment_fixed_size 0
		.amdhsa_kernarg_size 280
		.amdhsa_user_sgpr_count 15
		.amdhsa_user_sgpr_dispatch_ptr 0
		.amdhsa_user_sgpr_queue_ptr 0
		.amdhsa_user_sgpr_kernarg_segment_ptr 1
		.amdhsa_user_sgpr_dispatch_id 0
		.amdhsa_user_sgpr_private_segment_size 0
		.amdhsa_wavefront_size32 1
		.amdhsa_uses_dynamic_stack 0
		.amdhsa_enable_private_segment 0
		.amdhsa_system_sgpr_workgroup_id_x 1
		.amdhsa_system_sgpr_workgroup_id_y 0
		.amdhsa_system_sgpr_workgroup_id_z 0
		.amdhsa_system_sgpr_workgroup_info 0
		.amdhsa_system_vgpr_workitem_id 0
		.amdhsa_next_free_vgpr 26
		.amdhsa_next_free_sgpr 16
		.amdhsa_reserve_vcc 1
		.amdhsa_float_round_mode_32 0
		.amdhsa_float_round_mode_16_64 0
		.amdhsa_float_denorm_mode_32 3
		.amdhsa_float_denorm_mode_16_64 3
		.amdhsa_dx10_clamp 1
		.amdhsa_ieee_mode 1
		.amdhsa_fp16_overflow 0
		.amdhsa_workgroup_processor_mode 1
		.amdhsa_memory_ordered 1
		.amdhsa_forward_progress 0
		.amdhsa_shared_vgpr_count 0
		.amdhsa_exception_fp_ieee_invalid_op 0
		.amdhsa_exception_fp_denorm_src 0
		.amdhsa_exception_fp_ieee_div_zero 0
		.amdhsa_exception_fp_ieee_overflow 0
		.amdhsa_exception_fp_ieee_underflow 0
		.amdhsa_exception_fp_ieee_inexact 0
		.amdhsa_exception_int_div_zero 0
	.end_amdhsa_kernel
	.section	.text._ZN4vllm18act_and_mul_kernelIf15HIP_vector_typeIfLj2EETnPFT_RKS3_EXadL_ZNS_11gelu_kernelIfEES3_S5_EETnPFT0_RKS9_EXadL_ZNS_18packed_gelu_kernelIS2_EES3_S5_EELb1ELb1ELb0ELb0EEEvPS3_PS4_if,"axG",@progbits,_ZN4vllm18act_and_mul_kernelIf15HIP_vector_typeIfLj2EETnPFT_RKS3_EXadL_ZNS_11gelu_kernelIfEES3_S5_EETnPFT0_RKS9_EXadL_ZNS_18packed_gelu_kernelIS2_EES3_S5_EELb1ELb1ELb0ELb0EEEvPS3_PS4_if,comdat
.Lfunc_end32:
	.size	_ZN4vllm18act_and_mul_kernelIf15HIP_vector_typeIfLj2EETnPFT_RKS3_EXadL_ZNS_11gelu_kernelIfEES3_S5_EETnPFT0_RKS9_EXadL_ZNS_18packed_gelu_kernelIS2_EES3_S5_EELb1ELb1ELb0ELb0EEEvPS3_PS4_if, .Lfunc_end32-_ZN4vllm18act_and_mul_kernelIf15HIP_vector_typeIfLj2EETnPFT_RKS3_EXadL_ZNS_11gelu_kernelIfEES3_S5_EETnPFT0_RKS9_EXadL_ZNS_18packed_gelu_kernelIS2_EES3_S5_EELb1ELb1ELb0ELb0EEEvPS3_PS4_if
                                        ; -- End function
	.section	.AMDGPU.csdata,"",@progbits
; Kernel info:
; codeLenInByte = 1684
; NumSgprs: 18
; NumVgprs: 26
; ScratchSize: 0
; MemoryBound: 0
; FloatMode: 240
; IeeeMode: 1
; LDSByteSize: 0 bytes/workgroup (compile time only)
; SGPRBlocks: 2
; VGPRBlocks: 3
; NumSGPRsForWavesPerEU: 18
; NumVGPRsForWavesPerEU: 26
; Occupancy: 16
; WaveLimiterHint : 0
; COMPUTE_PGM_RSRC2:SCRATCH_EN: 0
; COMPUTE_PGM_RSRC2:USER_SGPR: 15
; COMPUTE_PGM_RSRC2:TRAP_HANDLER: 0
; COMPUTE_PGM_RSRC2:TGID_X_EN: 1
; COMPUTE_PGM_RSRC2:TGID_Y_EN: 0
; COMPUTE_PGM_RSRC2:TGID_Z_EN: 0
; COMPUTE_PGM_RSRC2:TIDIG_COMP_CNT: 0
	.section	.text._ZN4vllm18act_and_mul_kernelIN3c104HalfE7__half2TnPFT_RKS4_EXadL_ZNS_11gelu_kernelIS2_EES4_S6_EETnPFT0_RKSA_EXadL_ZNS_18packed_gelu_kernelIS3_EES4_S6_EELb1ELb1ELb0ELb0EEEvPS4_PS5_if,"axG",@progbits,_ZN4vllm18act_and_mul_kernelIN3c104HalfE7__half2TnPFT_RKS4_EXadL_ZNS_11gelu_kernelIS2_EES4_S6_EETnPFT0_RKSA_EXadL_ZNS_18packed_gelu_kernelIS3_EES4_S6_EELb1ELb1ELb0ELb0EEEvPS4_PS5_if,comdat
	.protected	_ZN4vllm18act_and_mul_kernelIN3c104HalfE7__half2TnPFT_RKS4_EXadL_ZNS_11gelu_kernelIS2_EES4_S6_EETnPFT0_RKSA_EXadL_ZNS_18packed_gelu_kernelIS3_EES4_S6_EELb1ELb1ELb0ELb0EEEvPS4_PS5_if ; -- Begin function _ZN4vllm18act_and_mul_kernelIN3c104HalfE7__half2TnPFT_RKS4_EXadL_ZNS_11gelu_kernelIS2_EES4_S6_EETnPFT0_RKSA_EXadL_ZNS_18packed_gelu_kernelIS3_EES4_S6_EELb1ELb1ELb0ELb0EEEvPS4_PS5_if
	.globl	_ZN4vllm18act_and_mul_kernelIN3c104HalfE7__half2TnPFT_RKS4_EXadL_ZNS_11gelu_kernelIS2_EES4_S6_EETnPFT0_RKSA_EXadL_ZNS_18packed_gelu_kernelIS3_EES4_S6_EELb1ELb1ELb0ELb0EEEvPS4_PS5_if
	.p2align	8
	.type	_ZN4vllm18act_and_mul_kernelIN3c104HalfE7__half2TnPFT_RKS4_EXadL_ZNS_11gelu_kernelIS2_EES4_S6_EETnPFT0_RKSA_EXadL_ZNS_18packed_gelu_kernelIS3_EES4_S6_EELb1ELb1ELb0ELb0EEEvPS4_PS5_if,@function
_ZN4vllm18act_and_mul_kernelIN3c104HalfE7__half2TnPFT_RKS4_EXadL_ZNS_11gelu_kernelIS2_EES4_S6_EETnPFT0_RKSA_EXadL_ZNS_18packed_gelu_kernelIS3_EES4_S6_EELb1ELb1ELb0ELb0EEEvPS4_PS5_if: ; @_ZN4vllm18act_and_mul_kernelIN3c104HalfE7__half2TnPFT_RKS4_EXadL_ZNS_11gelu_kernelIS2_EES4_S6_EETnPFT0_RKSA_EXadL_ZNS_18packed_gelu_kernelIS3_EES4_S6_EELb1ELb1ELb0ELb0EEEvPS4_PS5_if
; %bb.0:
	s_load_b32 s2, s[0:1], 0x10
	s_mov_b32 s5, exec_lo
	s_waitcnt lgkmcnt(0)
	s_ashr_i32 s3, s2, 31
	s_delay_alu instid0(SALU_CYCLE_1) | instskip(NEXT) | instid1(SALU_CYCLE_1)
	s_lshr_b32 s4, s3, 29
	s_add_i32 s4, s2, s4
	s_delay_alu instid0(SALU_CYCLE_1) | instskip(NEXT) | instid1(SALU_CYCLE_1)
	s_ashr_i32 s4, s4, 3
	v_cmpx_gt_i32_e64 s4, v0
	s_cbranch_execz .LBB33_35
; %bb.1:
	s_clause 0x1
	s_load_b32 s5, s[0:1], 0x24
	s_load_b128 s[8:11], s[0:1], 0x0
	s_mul_i32 s12, s15, s2
	s_mov_b32 s1, 0
	s_lshl_b32 s0, s12, 1
	v_lshlrev_b32_e32 v1, 4, v0
	s_lshl_b64 s[6:7], s[0:1], 1
	s_mov_b32 s13, s1
	s_waitcnt lgkmcnt(0)
	s_and_b32 s5, s5, 0xffff
	s_add_u32 s0, s10, s6
	s_addc_u32 s7, s11, s7
	v_add_co_u32 v9, s0, s0, v1
	s_lshl_b64 s[10:11], s[12:13], 1
	s_lshl_b32 s6, s5, 4
	s_lshl_b64 s[2:3], s[2:3], 1
	v_add_co_ci_u32_e64 v10, null, s7, 0, s0
	s_add_u32 s0, s8, s10
	s_addc_u32 s7, s9, s11
	v_add_co_u32 v11, vcc_lo, v9, s2
	v_add_co_u32 v13, s0, s0, v1
	v_add_co_ci_u32_e32 v12, vcc_lo, s3, v10, vcc_lo
	v_add_co_ci_u32_e64 v14, null, s7, 0, s0
	s_mov_b64 s[2:3], 0
	s_mov_b32 s7, 0x378e98ab
	s_mov_b32 s8, 0xba1345e1
	s_branch .LBB33_3
.LBB33_2:                               ;   in Loop: Header=BB33_3 Depth=1
	s_or_b32 exec_lo, exec_lo, s0
	v_bfi_b32 v16, 0x7fffffff, v17, v16
	v_mul_f32_e32 v17, 0.5, v18
	v_bfi_b32 v18, 0x7fffffff, v22, v21
	v_mul_f32_e32 v15, 0.5, v15
	v_bfi_b32 v5, 0x7fffffff, v19, v5
	v_dual_mul_f32 v19, 0.5, v20 :: v_dual_mul_f32 v6, 0.5, v6
	s_delay_alu instid0(VALU_DEP_4)
	v_add_f32_e32 v18, 1.0, v18
	v_add_f32_e32 v16, 1.0, v16
	v_bfi_b32 v20, 0x7fffffff, v24, v23
	v_bfi_b32 v22, 0x7fffffff, v32, v31
	v_add_f32_e32 v5, 1.0, v5
	v_fma_mixlo_f16 v18, v19, v18, 0
	v_bfi_b32 v19, 0x7fffffff, v27, v26
	v_fma_mixlo_f16 v15, v15, v16, 0
	v_add_f32_e32 v16, 1.0, v20
	v_dual_mul_f32 v20, 0.5, v28 :: v_dual_mul_f32 v21, 0.5, v25
	v_bfi_b32 v7, 0x7fffffff, v29, v7
	v_dual_add_f32 v19, 1.0, v19 :: v_dual_add_f32 v22, 1.0, v22
	v_dual_mul_f32 v23, 0.5, v30 :: v_dual_mul_f32 v8, 0.5, v8
	v_bfi_b32 v24, 0x7fffffff, v34, v33
	s_delay_alu instid0(VALU_DEP_4) | instskip(NEXT) | instid1(VALU_DEP_4)
	v_dual_add_f32 v7, 1.0, v7 :: v_dual_add_nc_u32 v0, s5, v0
	v_fma_mixlo_f16 v19, v21, v19, 0
	s_delay_alu instid0(VALU_DEP_4) | instskip(NEXT) | instid1(VALU_DEP_4)
	v_fma_mixlo_f16 v22, v23, v22, 0
	v_add_f32_e32 v21, 1.0, v24
	v_fma_mixhi_f16 v15, v17, v5, 0
	v_fma_mixhi_f16 v18, v6, v16, 0
	v_fma_mixhi_f16 v19, v20, v7, 0
	v_cmp_le_i32_e32 vcc_lo, s4, v0
	v_fma_mixhi_f16 v22, v8, v21, 0
	v_add_co_u32 v5, s0, v13, s2
	s_waitcnt vmcnt(0)
	v_pk_mul_f16 v1, v15, v1
	v_pk_mul_f16 v2, v18, v2
	;; [unrolled: 1-line block ×4, first 2 shown]
	v_add_co_ci_u32_e64 v6, s0, s3, v14, s0
	s_add_u32 s2, s2, s6
	s_addc_u32 s3, s3, 0
	s_or_b32 s1, vcc_lo, s1
	global_store_b128 v[5:6], v[1:4], off
	s_and_not1_b32 exec_lo, exec_lo, s1
	s_cbranch_execz .LBB33_35
.LBB33_3:                               ; =>This Inner Loop Header: Depth=1
	v_add_co_u32 v1, vcc_lo, v9, s2
	v_add_co_ci_u32_e32 v2, vcc_lo, s3, v10, vcc_lo
                                        ; implicit-def: $vgpr17
	global_load_b128 v[5:8], v[1:2], off
	v_add_co_u32 v1, vcc_lo, v11, s2
	v_add_co_ci_u32_e32 v2, vcc_lo, s3, v12, vcc_lo
	global_load_b128 v[1:4], v[1:2], off
	s_waitcnt vmcnt(1)
	v_cvt_f32_f16_e32 v15, v5
	s_delay_alu instid0(VALU_DEP_1) | instskip(NEXT) | instid1(VALU_DEP_1)
	v_mul_f32_e32 v16, 0x3f3504f3, v15
	v_cmp_nlt_f32_e64 s0, |v16|, 1.0
	s_delay_alu instid0(VALU_DEP_1) | instskip(NEXT) | instid1(SALU_CYCLE_1)
	s_and_saveexec_b32 s9, s0
	s_xor_b32 s0, exec_lo, s9
	s_cbranch_execz .LBB33_5
; %bb.4:                                ;   in Loop: Header=BB33_3 Depth=1
	v_fma_f32 v17, |v16|, s7, 0xb9c68948
	s_delay_alu instid0(VALU_DEP_1) | instskip(NEXT) | instid1(VALU_DEP_1)
	v_fma_f32 v17, |v16|, v17, 0x3b7cd369
	v_fma_f32 v17, |v16|, v17, 0xbcc618b2
	s_delay_alu instid0(VALU_DEP_1) | instskip(NEXT) | instid1(VALU_DEP_1)
	v_fma_f32 v17, |v16|, v17, 0x3dda74e4
	;; [unrolled: 3-line block ×3, first 2 shown]
	v_fma_f32 v17, |v16|, v17, |v16|
	s_delay_alu instid0(VALU_DEP_1) | instskip(SKIP_1) | instid1(VALU_DEP_2)
	v_mul_f32_e32 v18, 0xbfb8aa3b, v17
	v_cmp_nlt_f32_e32 vcc_lo, 0x42ce8ed0, v17
	v_fma_f32 v19, 0xbfb8aa3b, v17, -v18
	v_rndne_f32_e32 v20, v18
	s_delay_alu instid0(VALU_DEP_1) | instskip(NEXT) | instid1(VALU_DEP_1)
	v_dual_fmac_f32 v19, 0xb2a5705f, v17 :: v_dual_sub_f32 v18, v18, v20
	v_add_f32_e32 v18, v18, v19
	v_cvt_i32_f32_e32 v19, v20
	s_delay_alu instid0(VALU_DEP_2) | instskip(SKIP_2) | instid1(VALU_DEP_1)
	v_exp_f32_e32 v18, v18
	s_waitcnt_depctr 0xfff
	v_ldexp_f32 v18, v18, v19
	v_cndmask_b32_e32 v18, 0, v18, vcc_lo
	v_cmp_ngt_f32_e32 vcc_lo, 0xc2b17218, v17
	s_delay_alu instid0(VALU_DEP_2) | instskip(NEXT) | instid1(VALU_DEP_1)
	v_cndmask_b32_e32 v17, 0x7f800000, v18, vcc_lo
	v_sub_f32_e32 v17, 1.0, v17
.LBB33_5:                               ;   in Loop: Header=BB33_3 Depth=1
	s_and_not1_saveexec_b32 s0, s0
; %bb.6:                                ;   in Loop: Header=BB33_3 Depth=1
	v_mul_f32_e32 v17, v16, v16
	s_delay_alu instid0(VALU_DEP_1) | instskip(NEXT) | instid1(VALU_DEP_1)
	v_fmaak_f32 v18, s8, v17, 0x3ba10414
	v_fmaak_f32 v18, v17, v18, 0xbcdac9b8
	s_delay_alu instid0(VALU_DEP_1) | instskip(NEXT) | instid1(VALU_DEP_1)
	v_fmaak_f32 v18, v17, v18, 0x3de703be
	v_fmaak_f32 v18, v17, v18, 0xbec09330
	s_delay_alu instid0(VALU_DEP_1) | instskip(NEXT) | instid1(VALU_DEP_1)
	v_fmaak_f32 v17, v17, v18, 0x3e0375d0
	v_fma_f32 v17, |v16|, v17, |v16|
; %bb.7:                                ;   in Loop: Header=BB33_3 Depth=1
	s_or_b32 exec_lo, exec_lo, s0
	v_lshrrev_b32_e32 v5, 16, v5
                                        ; implicit-def: $vgpr19
	s_delay_alu instid0(VALU_DEP_1) | instskip(NEXT) | instid1(VALU_DEP_1)
	v_cvt_f32_f16_e32 v18, v5
	v_mul_f32_e32 v5, 0x3f3504f3, v18
	s_delay_alu instid0(VALU_DEP_1) | instskip(NEXT) | instid1(VALU_DEP_1)
	v_cmp_nlt_f32_e64 s0, |v5|, 1.0
	s_and_saveexec_b32 s9, s0
	s_delay_alu instid0(SALU_CYCLE_1)
	s_xor_b32 s0, exec_lo, s9
	s_cbranch_execz .LBB33_9
; %bb.8:                                ;   in Loop: Header=BB33_3 Depth=1
	v_fma_f32 v19, |v5|, s7, 0xb9c68948
	s_delay_alu instid0(VALU_DEP_1) | instskip(NEXT) | instid1(VALU_DEP_1)
	v_fma_f32 v19, |v5|, v19, 0x3b7cd369
	v_fma_f32 v19, |v5|, v19, 0xbcc618b2
	s_delay_alu instid0(VALU_DEP_1) | instskip(NEXT) | instid1(VALU_DEP_1)
	v_fma_f32 v19, |v5|, v19, 0x3dda74e4
	;; [unrolled: 3-line block ×3, first 2 shown]
	v_fma_f32 v19, |v5|, v19, |v5|
	s_delay_alu instid0(VALU_DEP_1) | instskip(SKIP_1) | instid1(VALU_DEP_2)
	v_mul_f32_e32 v20, 0xbfb8aa3b, v19
	v_cmp_nlt_f32_e32 vcc_lo, 0x42ce8ed0, v19
	v_fma_f32 v21, 0xbfb8aa3b, v19, -v20
	v_rndne_f32_e32 v22, v20
	s_delay_alu instid0(VALU_DEP_1) | instskip(NEXT) | instid1(VALU_DEP_1)
	v_dual_fmac_f32 v21, 0xb2a5705f, v19 :: v_dual_sub_f32 v20, v20, v22
	v_add_f32_e32 v20, v20, v21
	v_cvt_i32_f32_e32 v21, v22
	s_delay_alu instid0(VALU_DEP_2) | instskip(SKIP_2) | instid1(VALU_DEP_1)
	v_exp_f32_e32 v20, v20
	s_waitcnt_depctr 0xfff
	v_ldexp_f32 v20, v20, v21
	v_cndmask_b32_e32 v20, 0, v20, vcc_lo
	v_cmp_ngt_f32_e32 vcc_lo, 0xc2b17218, v19
	s_delay_alu instid0(VALU_DEP_2) | instskip(NEXT) | instid1(VALU_DEP_1)
	v_cndmask_b32_e32 v19, 0x7f800000, v20, vcc_lo
	v_sub_f32_e32 v19, 1.0, v19
.LBB33_9:                               ;   in Loop: Header=BB33_3 Depth=1
	s_and_not1_saveexec_b32 s0, s0
; %bb.10:                               ;   in Loop: Header=BB33_3 Depth=1
	v_mul_f32_e32 v19, v5, v5
	s_delay_alu instid0(VALU_DEP_1) | instskip(NEXT) | instid1(VALU_DEP_1)
	v_fmaak_f32 v20, s8, v19, 0x3ba10414
	v_fmaak_f32 v20, v19, v20, 0xbcdac9b8
	s_delay_alu instid0(VALU_DEP_1) | instskip(NEXT) | instid1(VALU_DEP_1)
	v_fmaak_f32 v20, v19, v20, 0x3de703be
	v_fmaak_f32 v20, v19, v20, 0xbec09330
	s_delay_alu instid0(VALU_DEP_1) | instskip(NEXT) | instid1(VALU_DEP_1)
	v_fmaak_f32 v19, v19, v20, 0x3e0375d0
	v_fma_f32 v19, |v5|, v19, |v5|
; %bb.11:                               ;   in Loop: Header=BB33_3 Depth=1
	s_or_b32 exec_lo, exec_lo, s0
	v_cvt_f32_f16_e32 v20, v6
                                        ; implicit-def: $vgpr22
	s_delay_alu instid0(VALU_DEP_1) | instskip(NEXT) | instid1(VALU_DEP_1)
	v_mul_f32_e32 v21, 0x3f3504f3, v20
	v_cmp_nlt_f32_e64 s0, |v21|, 1.0
	s_delay_alu instid0(VALU_DEP_1) | instskip(NEXT) | instid1(SALU_CYCLE_1)
	s_and_saveexec_b32 s9, s0
	s_xor_b32 s0, exec_lo, s9
	s_cbranch_execz .LBB33_13
; %bb.12:                               ;   in Loop: Header=BB33_3 Depth=1
	v_fma_f32 v22, |v21|, s7, 0xb9c68948
	s_delay_alu instid0(VALU_DEP_1) | instskip(NEXT) | instid1(VALU_DEP_1)
	v_fma_f32 v22, |v21|, v22, 0x3b7cd369
	v_fma_f32 v22, |v21|, v22, 0xbcc618b2
	s_delay_alu instid0(VALU_DEP_1) | instskip(NEXT) | instid1(VALU_DEP_1)
	v_fma_f32 v22, |v21|, v22, 0x3dda74e4
	;; [unrolled: 3-line block ×3, first 2 shown]
	v_fma_f32 v22, |v21|, v22, |v21|
	s_delay_alu instid0(VALU_DEP_1) | instskip(SKIP_1) | instid1(VALU_DEP_2)
	v_mul_f32_e32 v23, 0xbfb8aa3b, v22
	v_cmp_nlt_f32_e32 vcc_lo, 0x42ce8ed0, v22
	v_fma_f32 v24, 0xbfb8aa3b, v22, -v23
	v_rndne_f32_e32 v25, v23
	s_delay_alu instid0(VALU_DEP_1) | instskip(NEXT) | instid1(VALU_DEP_1)
	v_dual_fmac_f32 v24, 0xb2a5705f, v22 :: v_dual_sub_f32 v23, v23, v25
	v_add_f32_e32 v23, v23, v24
	v_cvt_i32_f32_e32 v24, v25
	s_delay_alu instid0(VALU_DEP_2) | instskip(SKIP_2) | instid1(VALU_DEP_1)
	v_exp_f32_e32 v23, v23
	s_waitcnt_depctr 0xfff
	v_ldexp_f32 v23, v23, v24
	v_cndmask_b32_e32 v23, 0, v23, vcc_lo
	v_cmp_ngt_f32_e32 vcc_lo, 0xc2b17218, v22
	s_delay_alu instid0(VALU_DEP_2) | instskip(NEXT) | instid1(VALU_DEP_1)
	v_cndmask_b32_e32 v22, 0x7f800000, v23, vcc_lo
	v_sub_f32_e32 v22, 1.0, v22
.LBB33_13:                              ;   in Loop: Header=BB33_3 Depth=1
	s_and_not1_saveexec_b32 s0, s0
; %bb.14:                               ;   in Loop: Header=BB33_3 Depth=1
	v_mul_f32_e32 v22, v21, v21
	s_delay_alu instid0(VALU_DEP_1) | instskip(NEXT) | instid1(VALU_DEP_1)
	v_fmaak_f32 v23, s8, v22, 0x3ba10414
	v_fmaak_f32 v23, v22, v23, 0xbcdac9b8
	s_delay_alu instid0(VALU_DEP_1) | instskip(NEXT) | instid1(VALU_DEP_1)
	v_fmaak_f32 v23, v22, v23, 0x3de703be
	v_fmaak_f32 v23, v22, v23, 0xbec09330
	s_delay_alu instid0(VALU_DEP_1) | instskip(NEXT) | instid1(VALU_DEP_1)
	v_fmaak_f32 v22, v22, v23, 0x3e0375d0
	v_fma_f32 v22, |v21|, v22, |v21|
; %bb.15:                               ;   in Loop: Header=BB33_3 Depth=1
	s_or_b32 exec_lo, exec_lo, s0
	v_lshrrev_b32_e32 v6, 16, v6
                                        ; implicit-def: $vgpr24
	s_delay_alu instid0(VALU_DEP_1) | instskip(NEXT) | instid1(VALU_DEP_1)
	v_cvt_f32_f16_e32 v6, v6
	v_mul_f32_e32 v23, 0x3f3504f3, v6
	s_delay_alu instid0(VALU_DEP_1) | instskip(NEXT) | instid1(VALU_DEP_1)
	v_cmp_nlt_f32_e64 s0, |v23|, 1.0
	s_and_saveexec_b32 s9, s0
	s_delay_alu instid0(SALU_CYCLE_1)
	s_xor_b32 s0, exec_lo, s9
	s_cbranch_execz .LBB33_17
; %bb.16:                               ;   in Loop: Header=BB33_3 Depth=1
	v_fma_f32 v24, |v23|, s7, 0xb9c68948
	s_delay_alu instid0(VALU_DEP_1) | instskip(NEXT) | instid1(VALU_DEP_1)
	v_fma_f32 v24, |v23|, v24, 0x3b7cd369
	v_fma_f32 v24, |v23|, v24, 0xbcc618b2
	s_delay_alu instid0(VALU_DEP_1) | instskip(NEXT) | instid1(VALU_DEP_1)
	v_fma_f32 v24, |v23|, v24, 0x3dda74e4
	;; [unrolled: 3-line block ×3, first 2 shown]
	v_fma_f32 v24, |v23|, v24, |v23|
	s_delay_alu instid0(VALU_DEP_1) | instskip(SKIP_1) | instid1(VALU_DEP_2)
	v_mul_f32_e32 v25, 0xbfb8aa3b, v24
	v_cmp_nlt_f32_e32 vcc_lo, 0x42ce8ed0, v24
	v_fma_f32 v26, 0xbfb8aa3b, v24, -v25
	v_rndne_f32_e32 v27, v25
	s_delay_alu instid0(VALU_DEP_1) | instskip(NEXT) | instid1(VALU_DEP_1)
	v_dual_fmac_f32 v26, 0xb2a5705f, v24 :: v_dual_sub_f32 v25, v25, v27
	v_add_f32_e32 v25, v25, v26
	v_cvt_i32_f32_e32 v26, v27
	s_delay_alu instid0(VALU_DEP_2) | instskip(SKIP_2) | instid1(VALU_DEP_1)
	v_exp_f32_e32 v25, v25
	s_waitcnt_depctr 0xfff
	v_ldexp_f32 v25, v25, v26
	v_cndmask_b32_e32 v25, 0, v25, vcc_lo
	v_cmp_ngt_f32_e32 vcc_lo, 0xc2b17218, v24
	s_delay_alu instid0(VALU_DEP_2) | instskip(NEXT) | instid1(VALU_DEP_1)
	v_cndmask_b32_e32 v24, 0x7f800000, v25, vcc_lo
	v_sub_f32_e32 v24, 1.0, v24
.LBB33_17:                              ;   in Loop: Header=BB33_3 Depth=1
	s_and_not1_saveexec_b32 s0, s0
; %bb.18:                               ;   in Loop: Header=BB33_3 Depth=1
	v_mul_f32_e32 v24, v23, v23
	s_delay_alu instid0(VALU_DEP_1) | instskip(NEXT) | instid1(VALU_DEP_1)
	v_fmaak_f32 v25, s8, v24, 0x3ba10414
	v_fmaak_f32 v25, v24, v25, 0xbcdac9b8
	s_delay_alu instid0(VALU_DEP_1) | instskip(NEXT) | instid1(VALU_DEP_1)
	v_fmaak_f32 v25, v24, v25, 0x3de703be
	v_fmaak_f32 v25, v24, v25, 0xbec09330
	s_delay_alu instid0(VALU_DEP_1) | instskip(NEXT) | instid1(VALU_DEP_1)
	v_fmaak_f32 v24, v24, v25, 0x3e0375d0
	v_fma_f32 v24, |v23|, v24, |v23|
; %bb.19:                               ;   in Loop: Header=BB33_3 Depth=1
	s_or_b32 exec_lo, exec_lo, s0
	v_cvt_f32_f16_e32 v25, v7
                                        ; implicit-def: $vgpr27
	s_delay_alu instid0(VALU_DEP_1) | instskip(NEXT) | instid1(VALU_DEP_1)
	v_mul_f32_e32 v26, 0x3f3504f3, v25
	v_cmp_nlt_f32_e64 s0, |v26|, 1.0
	s_delay_alu instid0(VALU_DEP_1) | instskip(NEXT) | instid1(SALU_CYCLE_1)
	s_and_saveexec_b32 s9, s0
	s_xor_b32 s0, exec_lo, s9
	s_cbranch_execz .LBB33_21
; %bb.20:                               ;   in Loop: Header=BB33_3 Depth=1
	v_fma_f32 v27, |v26|, s7, 0xb9c68948
	s_delay_alu instid0(VALU_DEP_1) | instskip(NEXT) | instid1(VALU_DEP_1)
	v_fma_f32 v27, |v26|, v27, 0x3b7cd369
	v_fma_f32 v27, |v26|, v27, 0xbcc618b2
	s_delay_alu instid0(VALU_DEP_1) | instskip(NEXT) | instid1(VALU_DEP_1)
	v_fma_f32 v27, |v26|, v27, 0x3dda74e4
	;; [unrolled: 3-line block ×3, first 2 shown]
	v_fma_f32 v27, |v26|, v27, |v26|
	s_delay_alu instid0(VALU_DEP_1) | instskip(SKIP_1) | instid1(VALU_DEP_2)
	v_mul_f32_e32 v28, 0xbfb8aa3b, v27
	v_cmp_nlt_f32_e32 vcc_lo, 0x42ce8ed0, v27
	v_fma_f32 v29, 0xbfb8aa3b, v27, -v28
	v_rndne_f32_e32 v30, v28
	s_delay_alu instid0(VALU_DEP_1) | instskip(NEXT) | instid1(VALU_DEP_1)
	v_dual_fmac_f32 v29, 0xb2a5705f, v27 :: v_dual_sub_f32 v28, v28, v30
	v_add_f32_e32 v28, v28, v29
	v_cvt_i32_f32_e32 v29, v30
	s_delay_alu instid0(VALU_DEP_2) | instskip(SKIP_2) | instid1(VALU_DEP_1)
	v_exp_f32_e32 v28, v28
	s_waitcnt_depctr 0xfff
	v_ldexp_f32 v28, v28, v29
	v_cndmask_b32_e32 v28, 0, v28, vcc_lo
	v_cmp_ngt_f32_e32 vcc_lo, 0xc2b17218, v27
	s_delay_alu instid0(VALU_DEP_2) | instskip(NEXT) | instid1(VALU_DEP_1)
	v_cndmask_b32_e32 v27, 0x7f800000, v28, vcc_lo
	v_sub_f32_e32 v27, 1.0, v27
.LBB33_21:                              ;   in Loop: Header=BB33_3 Depth=1
	s_and_not1_saveexec_b32 s0, s0
; %bb.22:                               ;   in Loop: Header=BB33_3 Depth=1
	v_mul_f32_e32 v27, v26, v26
	s_delay_alu instid0(VALU_DEP_1) | instskip(NEXT) | instid1(VALU_DEP_1)
	v_fmaak_f32 v28, s8, v27, 0x3ba10414
	v_fmaak_f32 v28, v27, v28, 0xbcdac9b8
	s_delay_alu instid0(VALU_DEP_1) | instskip(NEXT) | instid1(VALU_DEP_1)
	v_fmaak_f32 v28, v27, v28, 0x3de703be
	v_fmaak_f32 v28, v27, v28, 0xbec09330
	s_delay_alu instid0(VALU_DEP_1) | instskip(NEXT) | instid1(VALU_DEP_1)
	v_fmaak_f32 v27, v27, v28, 0x3e0375d0
	v_fma_f32 v27, |v26|, v27, |v26|
; %bb.23:                               ;   in Loop: Header=BB33_3 Depth=1
	s_or_b32 exec_lo, exec_lo, s0
	v_lshrrev_b32_e32 v7, 16, v7
                                        ; implicit-def: $vgpr29
	s_delay_alu instid0(VALU_DEP_1) | instskip(NEXT) | instid1(VALU_DEP_1)
	v_cvt_f32_f16_e32 v28, v7
	v_mul_f32_e32 v7, 0x3f3504f3, v28
	s_delay_alu instid0(VALU_DEP_1) | instskip(NEXT) | instid1(VALU_DEP_1)
	v_cmp_nlt_f32_e64 s0, |v7|, 1.0
	s_and_saveexec_b32 s9, s0
	s_delay_alu instid0(SALU_CYCLE_1)
	s_xor_b32 s0, exec_lo, s9
	s_cbranch_execz .LBB33_25
; %bb.24:                               ;   in Loop: Header=BB33_3 Depth=1
	v_fma_f32 v29, |v7|, s7, 0xb9c68948
	s_delay_alu instid0(VALU_DEP_1) | instskip(NEXT) | instid1(VALU_DEP_1)
	v_fma_f32 v29, |v7|, v29, 0x3b7cd369
	v_fma_f32 v29, |v7|, v29, 0xbcc618b2
	s_delay_alu instid0(VALU_DEP_1) | instskip(NEXT) | instid1(VALU_DEP_1)
	v_fma_f32 v29, |v7|, v29, 0x3dda74e4
	;; [unrolled: 3-line block ×3, first 2 shown]
	v_fma_f32 v29, |v7|, v29, |v7|
	s_delay_alu instid0(VALU_DEP_1) | instskip(SKIP_1) | instid1(VALU_DEP_2)
	v_mul_f32_e32 v30, 0xbfb8aa3b, v29
	v_cmp_nlt_f32_e32 vcc_lo, 0x42ce8ed0, v29
	v_fma_f32 v31, 0xbfb8aa3b, v29, -v30
	v_rndne_f32_e32 v32, v30
	s_delay_alu instid0(VALU_DEP_1) | instskip(NEXT) | instid1(VALU_DEP_1)
	v_dual_fmac_f32 v31, 0xb2a5705f, v29 :: v_dual_sub_f32 v30, v30, v32
	v_add_f32_e32 v30, v30, v31
	v_cvt_i32_f32_e32 v31, v32
	s_delay_alu instid0(VALU_DEP_2) | instskip(SKIP_2) | instid1(VALU_DEP_1)
	v_exp_f32_e32 v30, v30
	s_waitcnt_depctr 0xfff
	v_ldexp_f32 v30, v30, v31
	v_cndmask_b32_e32 v30, 0, v30, vcc_lo
	v_cmp_ngt_f32_e32 vcc_lo, 0xc2b17218, v29
	s_delay_alu instid0(VALU_DEP_2) | instskip(NEXT) | instid1(VALU_DEP_1)
	v_cndmask_b32_e32 v29, 0x7f800000, v30, vcc_lo
	v_sub_f32_e32 v29, 1.0, v29
.LBB33_25:                              ;   in Loop: Header=BB33_3 Depth=1
	s_and_not1_saveexec_b32 s0, s0
; %bb.26:                               ;   in Loop: Header=BB33_3 Depth=1
	v_mul_f32_e32 v29, v7, v7
	s_delay_alu instid0(VALU_DEP_1) | instskip(NEXT) | instid1(VALU_DEP_1)
	v_fmaak_f32 v30, s8, v29, 0x3ba10414
	v_fmaak_f32 v30, v29, v30, 0xbcdac9b8
	s_delay_alu instid0(VALU_DEP_1) | instskip(NEXT) | instid1(VALU_DEP_1)
	v_fmaak_f32 v30, v29, v30, 0x3de703be
	v_fmaak_f32 v30, v29, v30, 0xbec09330
	s_delay_alu instid0(VALU_DEP_1) | instskip(NEXT) | instid1(VALU_DEP_1)
	v_fmaak_f32 v29, v29, v30, 0x3e0375d0
	v_fma_f32 v29, |v7|, v29, |v7|
; %bb.27:                               ;   in Loop: Header=BB33_3 Depth=1
	s_or_b32 exec_lo, exec_lo, s0
	v_cvt_f32_f16_e32 v30, v8
                                        ; implicit-def: $vgpr32
	s_delay_alu instid0(VALU_DEP_1) | instskip(NEXT) | instid1(VALU_DEP_1)
	v_mul_f32_e32 v31, 0x3f3504f3, v30
	v_cmp_nlt_f32_e64 s0, |v31|, 1.0
	s_delay_alu instid0(VALU_DEP_1) | instskip(NEXT) | instid1(SALU_CYCLE_1)
	s_and_saveexec_b32 s9, s0
	s_xor_b32 s0, exec_lo, s9
	s_cbranch_execz .LBB33_29
; %bb.28:                               ;   in Loop: Header=BB33_3 Depth=1
	v_fma_f32 v32, |v31|, s7, 0xb9c68948
	s_delay_alu instid0(VALU_DEP_1) | instskip(NEXT) | instid1(VALU_DEP_1)
	v_fma_f32 v32, |v31|, v32, 0x3b7cd369
	v_fma_f32 v32, |v31|, v32, 0xbcc618b2
	s_delay_alu instid0(VALU_DEP_1) | instskip(NEXT) | instid1(VALU_DEP_1)
	v_fma_f32 v32, |v31|, v32, 0x3dda74e4
	;; [unrolled: 3-line block ×3, first 2 shown]
	v_fma_f32 v32, |v31|, v32, |v31|
	s_delay_alu instid0(VALU_DEP_1) | instskip(SKIP_1) | instid1(VALU_DEP_2)
	v_mul_f32_e32 v33, 0xbfb8aa3b, v32
	v_cmp_nlt_f32_e32 vcc_lo, 0x42ce8ed0, v32
	v_fma_f32 v34, 0xbfb8aa3b, v32, -v33
	v_rndne_f32_e32 v35, v33
	s_delay_alu instid0(VALU_DEP_1) | instskip(NEXT) | instid1(VALU_DEP_1)
	v_dual_fmac_f32 v34, 0xb2a5705f, v32 :: v_dual_sub_f32 v33, v33, v35
	v_add_f32_e32 v33, v33, v34
	v_cvt_i32_f32_e32 v34, v35
	s_delay_alu instid0(VALU_DEP_2) | instskip(SKIP_2) | instid1(VALU_DEP_1)
	v_exp_f32_e32 v33, v33
	s_waitcnt_depctr 0xfff
	v_ldexp_f32 v33, v33, v34
	v_cndmask_b32_e32 v33, 0, v33, vcc_lo
	v_cmp_ngt_f32_e32 vcc_lo, 0xc2b17218, v32
	s_delay_alu instid0(VALU_DEP_2) | instskip(NEXT) | instid1(VALU_DEP_1)
	v_cndmask_b32_e32 v32, 0x7f800000, v33, vcc_lo
	v_sub_f32_e32 v32, 1.0, v32
.LBB33_29:                              ;   in Loop: Header=BB33_3 Depth=1
	s_and_not1_saveexec_b32 s0, s0
; %bb.30:                               ;   in Loop: Header=BB33_3 Depth=1
	v_mul_f32_e32 v32, v31, v31
	s_delay_alu instid0(VALU_DEP_1) | instskip(NEXT) | instid1(VALU_DEP_1)
	v_fmaak_f32 v33, s8, v32, 0x3ba10414
	v_fmaak_f32 v33, v32, v33, 0xbcdac9b8
	s_delay_alu instid0(VALU_DEP_1) | instskip(NEXT) | instid1(VALU_DEP_1)
	v_fmaak_f32 v33, v32, v33, 0x3de703be
	v_fmaak_f32 v33, v32, v33, 0xbec09330
	s_delay_alu instid0(VALU_DEP_1) | instskip(NEXT) | instid1(VALU_DEP_1)
	v_fmaak_f32 v32, v32, v33, 0x3e0375d0
	v_fma_f32 v32, |v31|, v32, |v31|
; %bb.31:                               ;   in Loop: Header=BB33_3 Depth=1
	s_or_b32 exec_lo, exec_lo, s0
	v_lshrrev_b32_e32 v8, 16, v8
                                        ; implicit-def: $vgpr34
	s_delay_alu instid0(VALU_DEP_1) | instskip(NEXT) | instid1(VALU_DEP_1)
	v_cvt_f32_f16_e32 v8, v8
	v_mul_f32_e32 v33, 0x3f3504f3, v8
	s_delay_alu instid0(VALU_DEP_1) | instskip(NEXT) | instid1(VALU_DEP_1)
	v_cmp_nlt_f32_e64 s0, |v33|, 1.0
	s_and_saveexec_b32 s9, s0
	s_delay_alu instid0(SALU_CYCLE_1)
	s_xor_b32 s0, exec_lo, s9
	s_cbranch_execz .LBB33_33
; %bb.32:                               ;   in Loop: Header=BB33_3 Depth=1
	v_fma_f32 v34, |v33|, s7, 0xb9c68948
	s_delay_alu instid0(VALU_DEP_1) | instskip(NEXT) | instid1(VALU_DEP_1)
	v_fma_f32 v34, |v33|, v34, 0x3b7cd369
	v_fma_f32 v34, |v33|, v34, 0xbcc618b2
	s_delay_alu instid0(VALU_DEP_1) | instskip(NEXT) | instid1(VALU_DEP_1)
	v_fma_f32 v34, |v33|, v34, 0x3dda74e4
	;; [unrolled: 3-line block ×3, first 2 shown]
	v_fma_f32 v34, |v33|, v34, |v33|
	s_delay_alu instid0(VALU_DEP_1) | instskip(SKIP_1) | instid1(VALU_DEP_2)
	v_mul_f32_e32 v35, 0xbfb8aa3b, v34
	v_cmp_nlt_f32_e32 vcc_lo, 0x42ce8ed0, v34
	v_fma_f32 v36, 0xbfb8aa3b, v34, -v35
	v_rndne_f32_e32 v37, v35
	s_delay_alu instid0(VALU_DEP_1) | instskip(NEXT) | instid1(VALU_DEP_1)
	v_dual_fmac_f32 v36, 0xb2a5705f, v34 :: v_dual_sub_f32 v35, v35, v37
	v_add_f32_e32 v35, v35, v36
	v_cvt_i32_f32_e32 v36, v37
	s_delay_alu instid0(VALU_DEP_2) | instskip(SKIP_2) | instid1(VALU_DEP_1)
	v_exp_f32_e32 v35, v35
	s_waitcnt_depctr 0xfff
	v_ldexp_f32 v35, v35, v36
	v_cndmask_b32_e32 v35, 0, v35, vcc_lo
	v_cmp_ngt_f32_e32 vcc_lo, 0xc2b17218, v34
	s_delay_alu instid0(VALU_DEP_2) | instskip(NEXT) | instid1(VALU_DEP_1)
	v_cndmask_b32_e32 v34, 0x7f800000, v35, vcc_lo
	v_sub_f32_e32 v34, 1.0, v34
.LBB33_33:                              ;   in Loop: Header=BB33_3 Depth=1
	s_and_not1_saveexec_b32 s0, s0
	s_cbranch_execz .LBB33_2
; %bb.34:                               ;   in Loop: Header=BB33_3 Depth=1
	v_mul_f32_e32 v34, v33, v33
	s_delay_alu instid0(VALU_DEP_1) | instskip(NEXT) | instid1(VALU_DEP_1)
	v_fmaak_f32 v35, s8, v34, 0x3ba10414
	v_fmaak_f32 v35, v34, v35, 0xbcdac9b8
	s_delay_alu instid0(VALU_DEP_1) | instskip(NEXT) | instid1(VALU_DEP_1)
	v_fmaak_f32 v35, v34, v35, 0x3de703be
	v_fmaak_f32 v35, v34, v35, 0xbec09330
	s_delay_alu instid0(VALU_DEP_1) | instskip(NEXT) | instid1(VALU_DEP_1)
	v_fmaak_f32 v34, v34, v35, 0x3e0375d0
	v_fma_f32 v34, |v33|, v34, |v33|
	s_branch .LBB33_2
.LBB33_35:
	s_nop 0
	s_sendmsg sendmsg(MSG_DEALLOC_VGPRS)
	s_endpgm
	.section	.rodata,"a",@progbits
	.p2align	6, 0x0
	.amdhsa_kernel _ZN4vllm18act_and_mul_kernelIN3c104HalfE7__half2TnPFT_RKS4_EXadL_ZNS_11gelu_kernelIS2_EES4_S6_EETnPFT0_RKSA_EXadL_ZNS_18packed_gelu_kernelIS3_EES4_S6_EELb1ELb1ELb0ELb0EEEvPS4_PS5_if
		.amdhsa_group_segment_fixed_size 0
		.amdhsa_private_segment_fixed_size 0
		.amdhsa_kernarg_size 280
		.amdhsa_user_sgpr_count 15
		.amdhsa_user_sgpr_dispatch_ptr 0
		.amdhsa_user_sgpr_queue_ptr 0
		.amdhsa_user_sgpr_kernarg_segment_ptr 1
		.amdhsa_user_sgpr_dispatch_id 0
		.amdhsa_user_sgpr_private_segment_size 0
		.amdhsa_wavefront_size32 1
		.amdhsa_uses_dynamic_stack 0
		.amdhsa_enable_private_segment 0
		.amdhsa_system_sgpr_workgroup_id_x 1
		.amdhsa_system_sgpr_workgroup_id_y 0
		.amdhsa_system_sgpr_workgroup_id_z 0
		.amdhsa_system_sgpr_workgroup_info 0
		.amdhsa_system_vgpr_workitem_id 0
		.amdhsa_next_free_vgpr 38
		.amdhsa_next_free_sgpr 16
		.amdhsa_reserve_vcc 1
		.amdhsa_float_round_mode_32 0
		.amdhsa_float_round_mode_16_64 0
		.amdhsa_float_denorm_mode_32 3
		.amdhsa_float_denorm_mode_16_64 3
		.amdhsa_dx10_clamp 1
		.amdhsa_ieee_mode 1
		.amdhsa_fp16_overflow 0
		.amdhsa_workgroup_processor_mode 1
		.amdhsa_memory_ordered 1
		.amdhsa_forward_progress 0
		.amdhsa_shared_vgpr_count 0
		.amdhsa_exception_fp_ieee_invalid_op 0
		.amdhsa_exception_fp_denorm_src 0
		.amdhsa_exception_fp_ieee_div_zero 0
		.amdhsa_exception_fp_ieee_overflow 0
		.amdhsa_exception_fp_ieee_underflow 0
		.amdhsa_exception_fp_ieee_inexact 0
		.amdhsa_exception_int_div_zero 0
	.end_amdhsa_kernel
	.section	.text._ZN4vllm18act_and_mul_kernelIN3c104HalfE7__half2TnPFT_RKS4_EXadL_ZNS_11gelu_kernelIS2_EES4_S6_EETnPFT0_RKSA_EXadL_ZNS_18packed_gelu_kernelIS3_EES4_S6_EELb1ELb1ELb0ELb0EEEvPS4_PS5_if,"axG",@progbits,_ZN4vllm18act_and_mul_kernelIN3c104HalfE7__half2TnPFT_RKS4_EXadL_ZNS_11gelu_kernelIS2_EES4_S6_EETnPFT0_RKSA_EXadL_ZNS_18packed_gelu_kernelIS3_EES4_S6_EELb1ELb1ELb0ELb0EEEvPS4_PS5_if,comdat
.Lfunc_end33:
	.size	_ZN4vllm18act_and_mul_kernelIN3c104HalfE7__half2TnPFT_RKS4_EXadL_ZNS_11gelu_kernelIS2_EES4_S6_EETnPFT0_RKSA_EXadL_ZNS_18packed_gelu_kernelIS3_EES4_S6_EELb1ELb1ELb0ELb0EEEvPS4_PS5_if, .Lfunc_end33-_ZN4vllm18act_and_mul_kernelIN3c104HalfE7__half2TnPFT_RKS4_EXadL_ZNS_11gelu_kernelIS2_EES4_S6_EETnPFT0_RKSA_EXadL_ZNS_18packed_gelu_kernelIS3_EES4_S6_EELb1ELb1ELb0ELb0EEEvPS4_PS5_if
                                        ; -- End function
	.section	.AMDGPU.csdata,"",@progbits
; Kernel info:
; codeLenInByte = 3120
; NumSgprs: 18
; NumVgprs: 38
; ScratchSize: 0
; MemoryBound: 0
; FloatMode: 240
; IeeeMode: 1
; LDSByteSize: 0 bytes/workgroup (compile time only)
; SGPRBlocks: 2
; VGPRBlocks: 4
; NumSGPRsForWavesPerEU: 18
; NumVGPRsForWavesPerEU: 38
; Occupancy: 16
; WaveLimiterHint : 0
; COMPUTE_PGM_RSRC2:SCRATCH_EN: 0
; COMPUTE_PGM_RSRC2:USER_SGPR: 15
; COMPUTE_PGM_RSRC2:TRAP_HANDLER: 0
; COMPUTE_PGM_RSRC2:TGID_X_EN: 1
; COMPUTE_PGM_RSRC2:TGID_Y_EN: 0
; COMPUTE_PGM_RSRC2:TGID_Z_EN: 0
; COMPUTE_PGM_RSRC2:TIDIG_COMP_CNT: 0
	.section	.text._ZN4vllm18act_and_mul_kernelIN3c108BFloat16E15__hip_bfloat162TnPFT_RKS4_EXadL_ZNS_11gelu_kernelIS2_EES4_S6_EETnPFT0_RKSA_EXadL_ZNS_18packed_gelu_kernelIS3_EES4_S6_EELb1ELb1ELb0ELb0EEEvPS4_PS5_if,"axG",@progbits,_ZN4vllm18act_and_mul_kernelIN3c108BFloat16E15__hip_bfloat162TnPFT_RKS4_EXadL_ZNS_11gelu_kernelIS2_EES4_S6_EETnPFT0_RKSA_EXadL_ZNS_18packed_gelu_kernelIS3_EES4_S6_EELb1ELb1ELb0ELb0EEEvPS4_PS5_if,comdat
	.protected	_ZN4vllm18act_and_mul_kernelIN3c108BFloat16E15__hip_bfloat162TnPFT_RKS4_EXadL_ZNS_11gelu_kernelIS2_EES4_S6_EETnPFT0_RKSA_EXadL_ZNS_18packed_gelu_kernelIS3_EES4_S6_EELb1ELb1ELb0ELb0EEEvPS4_PS5_if ; -- Begin function _ZN4vllm18act_and_mul_kernelIN3c108BFloat16E15__hip_bfloat162TnPFT_RKS4_EXadL_ZNS_11gelu_kernelIS2_EES4_S6_EETnPFT0_RKSA_EXadL_ZNS_18packed_gelu_kernelIS3_EES4_S6_EELb1ELb1ELb0ELb0EEEvPS4_PS5_if
	.globl	_ZN4vllm18act_and_mul_kernelIN3c108BFloat16E15__hip_bfloat162TnPFT_RKS4_EXadL_ZNS_11gelu_kernelIS2_EES4_S6_EETnPFT0_RKSA_EXadL_ZNS_18packed_gelu_kernelIS3_EES4_S6_EELb1ELb1ELb0ELb0EEEvPS4_PS5_if
	.p2align	8
	.type	_ZN4vllm18act_and_mul_kernelIN3c108BFloat16E15__hip_bfloat162TnPFT_RKS4_EXadL_ZNS_11gelu_kernelIS2_EES4_S6_EETnPFT0_RKSA_EXadL_ZNS_18packed_gelu_kernelIS3_EES4_S6_EELb1ELb1ELb0ELb0EEEvPS4_PS5_if,@function
_ZN4vllm18act_and_mul_kernelIN3c108BFloat16E15__hip_bfloat162TnPFT_RKS4_EXadL_ZNS_11gelu_kernelIS2_EES4_S6_EETnPFT0_RKSA_EXadL_ZNS_18packed_gelu_kernelIS3_EES4_S6_EELb1ELb1ELb0ELb0EEEvPS4_PS5_if: ; @_ZN4vllm18act_and_mul_kernelIN3c108BFloat16E15__hip_bfloat162TnPFT_RKS4_EXadL_ZNS_11gelu_kernelIS2_EES4_S6_EETnPFT0_RKSA_EXadL_ZNS_18packed_gelu_kernelIS3_EES4_S6_EELb1ELb1ELb0ELb0EEEvPS4_PS5_if
; %bb.0:
	s_load_b32 s2, s[0:1], 0x10
	s_mov_b32 s5, exec_lo
	s_waitcnt lgkmcnt(0)
	s_ashr_i32 s3, s2, 31
	s_delay_alu instid0(SALU_CYCLE_1) | instskip(NEXT) | instid1(SALU_CYCLE_1)
	s_lshr_b32 s4, s3, 29
	s_add_i32 s4, s2, s4
	s_delay_alu instid0(SALU_CYCLE_1) | instskip(NEXT) | instid1(SALU_CYCLE_1)
	s_ashr_i32 s4, s4, 3
	v_cmpx_gt_i32_e64 s4, v0
	s_cbranch_execz .LBB34_99
; %bb.1:
	s_clause 0x1
	s_load_b32 s5, s[0:1], 0x24
	s_load_b128 s[8:11], s[0:1], 0x0
	s_mul_i32 s12, s15, s2
	s_mov_b32 s1, 0
	s_lshl_b32 s0, s12, 1
	v_lshlrev_b32_e32 v1, 4, v0
	s_lshl_b64 s[6:7], s[0:1], 1
	s_mov_b32 s13, s1
	s_waitcnt lgkmcnt(0)
	s_and_b32 s5, s5, 0xffff
	s_add_u32 s0, s10, s6
	s_addc_u32 s7, s11, s7
	v_add_co_u32 v9, s0, s0, v1
	s_lshl_b64 s[10:11], s[12:13], 1
	s_lshl_b32 s6, s5, 4
	s_lshl_b64 s[2:3], s[2:3], 1
	v_add_co_ci_u32_e64 v10, null, s7, 0, s0
	s_add_u32 s0, s8, s10
	s_addc_u32 s7, s9, s11
	v_add_co_u32 v11, vcc_lo, v9, s2
	v_add_co_u32 v13, s0, s0, v1
	v_add_co_ci_u32_e32 v12, vcc_lo, s3, v10, vcc_lo
	v_add_co_ci_u32_e64 v14, null, s7, 0, s0
	s_mov_b64 s[2:3], 0
	s_mov_b32 s7, 0x378e98ab
	s_mov_b32 s8, 0xba1345e1
	s_branch .LBB34_3
.LBB34_2:                               ;   in Loop: Header=BB34_3 Depth=1
	s_or_b32 exec_lo, exec_lo, s0
	v_add_nc_u32_e32 v0, s5, v0
	v_perm_b32 v1, v1, v5, 0x7060302
	v_add_co_u32 v5, s0, v13, s2
	v_perm_b32 v4, v4, v8, 0x7060302
	s_delay_alu instid0(VALU_DEP_4)
	v_cmp_le_i32_e32 vcc_lo, s4, v0
	v_perm_b32 v3, v3, v7, 0x7060302
	v_perm_b32 v2, v2, v6, 0x7060302
	v_add_co_ci_u32_e64 v6, s0, s3, v14, s0
	s_add_u32 s2, s2, s6
	s_addc_u32 s3, s3, 0
	s_or_b32 s1, vcc_lo, s1
	global_store_b128 v[5:6], v[1:4], off
	s_and_not1_b32 exec_lo, exec_lo, s1
	s_cbranch_execz .LBB34_99
.LBB34_3:                               ; =>This Inner Loop Header: Depth=1
	v_add_co_u32 v1, vcc_lo, v9, s2
	v_add_co_ci_u32_e32 v2, vcc_lo, s3, v10, vcc_lo
                                        ; implicit-def: $vgpr18
	global_load_b128 v[5:8], v[1:2], off
	v_add_co_u32 v1, vcc_lo, v11, s2
	v_add_co_ci_u32_e32 v2, vcc_lo, s3, v12, vcc_lo
	global_load_b128 v[1:4], v[1:2], off
	s_waitcnt vmcnt(1)
	v_lshlrev_b32_e32 v15, 16, v5
	s_delay_alu instid0(VALU_DEP_1) | instskip(NEXT) | instid1(VALU_DEP_1)
	v_mul_f32_e32 v16, 0x3f3504f3, v15
	v_cmp_nlt_f32_e64 s0, |v16|, 1.0
	s_delay_alu instid0(VALU_DEP_1) | instskip(NEXT) | instid1(SALU_CYCLE_1)
	s_and_saveexec_b32 s9, s0
	s_xor_b32 s0, exec_lo, s9
	s_cbranch_execz .LBB34_5
; %bb.4:                                ;   in Loop: Header=BB34_3 Depth=1
	v_fma_f32 v17, |v16|, s7, 0xb9c68948
	s_delay_alu instid0(VALU_DEP_1) | instskip(NEXT) | instid1(VALU_DEP_1)
	v_fma_f32 v17, |v16|, v17, 0x3b7cd369
	v_fma_f32 v17, |v16|, v17, 0xbcc618b2
	s_delay_alu instid0(VALU_DEP_1) | instskip(NEXT) | instid1(VALU_DEP_1)
	v_fma_f32 v17, |v16|, v17, 0x3dda74e4
	;; [unrolled: 3-line block ×3, first 2 shown]
	v_fma_f32 v17, |v16|, v17, |v16|
	s_delay_alu instid0(VALU_DEP_1) | instskip(SKIP_1) | instid1(VALU_DEP_2)
	v_mul_f32_e32 v18, 0xbfb8aa3b, v17
	v_cmp_nlt_f32_e32 vcc_lo, 0x42ce8ed0, v17
	v_fma_f32 v19, 0xbfb8aa3b, v17, -v18
	v_rndne_f32_e32 v20, v18
	s_delay_alu instid0(VALU_DEP_1) | instskip(NEXT) | instid1(VALU_DEP_1)
	v_dual_fmac_f32 v19, 0xb2a5705f, v17 :: v_dual_sub_f32 v18, v18, v20
	v_add_f32_e32 v18, v18, v19
	v_cvt_i32_f32_e32 v19, v20
	s_delay_alu instid0(VALU_DEP_2) | instskip(SKIP_2) | instid1(VALU_DEP_1)
	v_exp_f32_e32 v18, v18
	s_waitcnt_depctr 0xfff
	v_ldexp_f32 v18, v18, v19
	v_cndmask_b32_e32 v18, 0, v18, vcc_lo
	v_cmp_ngt_f32_e32 vcc_lo, 0xc2b17218, v17
	s_delay_alu instid0(VALU_DEP_2) | instskip(NEXT) | instid1(VALU_DEP_1)
	v_cndmask_b32_e32 v17, 0x7f800000, v18, vcc_lo
	v_sub_f32_e32 v18, 1.0, v17
.LBB34_5:                               ;   in Loop: Header=BB34_3 Depth=1
	s_and_not1_saveexec_b32 s0, s0
; %bb.6:                                ;   in Loop: Header=BB34_3 Depth=1
	v_mul_f32_e32 v17, v16, v16
	s_delay_alu instid0(VALU_DEP_1) | instskip(NEXT) | instid1(VALU_DEP_1)
	v_fmaak_f32 v18, s8, v17, 0x3ba10414
	v_fmaak_f32 v18, v17, v18, 0xbcdac9b8
	s_delay_alu instid0(VALU_DEP_1) | instskip(NEXT) | instid1(VALU_DEP_1)
	v_fmaak_f32 v18, v17, v18, 0x3de703be
	v_fmaak_f32 v18, v17, v18, 0xbec09330
	s_delay_alu instid0(VALU_DEP_1) | instskip(NEXT) | instid1(VALU_DEP_1)
	v_fmaak_f32 v17, v17, v18, 0x3e0375d0
	v_fma_f32 v18, |v16|, v17, |v16|
; %bb.7:                                ;   in Loop: Header=BB34_3 Depth=1
	s_or_b32 exec_lo, exec_lo, s0
	v_and_b32_e32 v5, 0xffff0000, v5
                                        ; implicit-def: $vgpr19
	s_delay_alu instid0(VALU_DEP_1) | instskip(NEXT) | instid1(VALU_DEP_1)
	v_mul_f32_e32 v17, 0x3f3504f3, v5
	v_cmp_nlt_f32_e64 s0, |v17|, 1.0
	s_delay_alu instid0(VALU_DEP_1) | instskip(NEXT) | instid1(SALU_CYCLE_1)
	s_and_saveexec_b32 s9, s0
	s_xor_b32 s0, exec_lo, s9
	s_cbranch_execz .LBB34_9
; %bb.8:                                ;   in Loop: Header=BB34_3 Depth=1
	v_fma_f32 v19, |v17|, s7, 0xb9c68948
	s_delay_alu instid0(VALU_DEP_1) | instskip(NEXT) | instid1(VALU_DEP_1)
	v_fma_f32 v19, |v17|, v19, 0x3b7cd369
	v_fma_f32 v19, |v17|, v19, 0xbcc618b2
	s_delay_alu instid0(VALU_DEP_1) | instskip(NEXT) | instid1(VALU_DEP_1)
	v_fma_f32 v19, |v17|, v19, 0x3dda74e4
	;; [unrolled: 3-line block ×3, first 2 shown]
	v_fma_f32 v19, |v17|, v19, |v17|
	s_delay_alu instid0(VALU_DEP_1) | instskip(SKIP_1) | instid1(VALU_DEP_2)
	v_mul_f32_e32 v20, 0xbfb8aa3b, v19
	v_cmp_nlt_f32_e32 vcc_lo, 0x42ce8ed0, v19
	v_fma_f32 v21, 0xbfb8aa3b, v19, -v20
	v_rndne_f32_e32 v22, v20
	s_delay_alu instid0(VALU_DEP_1) | instskip(NEXT) | instid1(VALU_DEP_1)
	v_dual_fmac_f32 v21, 0xb2a5705f, v19 :: v_dual_sub_f32 v20, v20, v22
	v_add_f32_e32 v20, v20, v21
	v_cvt_i32_f32_e32 v21, v22
	s_delay_alu instid0(VALU_DEP_2) | instskip(SKIP_2) | instid1(VALU_DEP_1)
	v_exp_f32_e32 v20, v20
	s_waitcnt_depctr 0xfff
	v_ldexp_f32 v20, v20, v21
	v_cndmask_b32_e32 v20, 0, v20, vcc_lo
	v_cmp_ngt_f32_e32 vcc_lo, 0xc2b17218, v19
	s_delay_alu instid0(VALU_DEP_2) | instskip(NEXT) | instid1(VALU_DEP_1)
	v_cndmask_b32_e32 v19, 0x7f800000, v20, vcc_lo
	v_sub_f32_e32 v19, 1.0, v19
.LBB34_9:                               ;   in Loop: Header=BB34_3 Depth=1
	s_and_not1_saveexec_b32 s0, s0
; %bb.10:                               ;   in Loop: Header=BB34_3 Depth=1
	v_mul_f32_e32 v19, v17, v17
	s_delay_alu instid0(VALU_DEP_1) | instskip(NEXT) | instid1(VALU_DEP_1)
	v_fmaak_f32 v20, s8, v19, 0x3ba10414
	v_fmaak_f32 v20, v19, v20, 0xbcdac9b8
	s_delay_alu instid0(VALU_DEP_1) | instskip(NEXT) | instid1(VALU_DEP_1)
	v_fmaak_f32 v20, v19, v20, 0x3de703be
	v_fmaak_f32 v20, v19, v20, 0xbec09330
	s_delay_alu instid0(VALU_DEP_1) | instskip(NEXT) | instid1(VALU_DEP_1)
	v_fmaak_f32 v19, v19, v20, 0x3e0375d0
	v_fma_f32 v19, |v17|, v19, |v17|
; %bb.11:                               ;   in Loop: Header=BB34_3 Depth=1
	s_or_b32 exec_lo, exec_lo, s0
	v_bfi_b32 v16, 0x7fffffff, v18, v16
	s_delay_alu instid0(VALU_DEP_1) | instskip(NEXT) | instid1(VALU_DEP_1)
	v_dual_mul_f32 v15, 0.5, v15 :: v_dual_add_f32 v16, 1.0, v16
	v_mul_f32_e32 v16, v15, v16
	s_delay_alu instid0(VALU_DEP_1) | instskip(NEXT) | instid1(VALU_DEP_1)
	v_and_b32_e32 v15, 0x7f800000, v16
	v_cmp_ne_u32_e32 vcc_lo, 0x7f800000, v15
                                        ; implicit-def: $vgpr15
	s_and_saveexec_b32 s0, vcc_lo
	s_delay_alu instid0(SALU_CYCLE_1)
	s_xor_b32 s0, exec_lo, s0
; %bb.12:                               ;   in Loop: Header=BB34_3 Depth=1
	v_bfe_u32 v15, v16, 16, 1
	s_delay_alu instid0(VALU_DEP_1)
	v_add3_u32 v15, v16, v15, 0x7fff
                                        ; implicit-def: $vgpr16
; %bb.13:                               ;   in Loop: Header=BB34_3 Depth=1
	s_and_not1_saveexec_b32 s0, s0
; %bb.14:                               ;   in Loop: Header=BB34_3 Depth=1
	v_and_b32_e32 v15, 0xffff, v16
	v_or_b32_e32 v18, 0x10000, v16
	s_delay_alu instid0(VALU_DEP_2) | instskip(NEXT) | instid1(VALU_DEP_2)
	v_cmp_eq_u32_e32 vcc_lo, 0, v15
	v_cndmask_b32_e32 v15, v18, v16, vcc_lo
; %bb.15:                               ;   in Loop: Header=BB34_3 Depth=1
	s_or_b32 exec_lo, exec_lo, s0
	v_bfi_b32 v16, 0x7fffffff, v19, v17
	s_delay_alu instid0(VALU_DEP_1) | instskip(NEXT) | instid1(VALU_DEP_1)
	v_dual_mul_f32 v5, 0.5, v5 :: v_dual_add_f32 v16, 1.0, v16
	v_mul_f32_e32 v5, v5, v16
	s_delay_alu instid0(VALU_DEP_1) | instskip(NEXT) | instid1(VALU_DEP_1)
	v_and_b32_e32 v16, 0x7f800000, v5
	v_cmp_ne_u32_e32 vcc_lo, 0x7f800000, v16
                                        ; implicit-def: $vgpr16
	s_and_saveexec_b32 s0, vcc_lo
	s_delay_alu instid0(SALU_CYCLE_1)
	s_xor_b32 s0, exec_lo, s0
; %bb.16:                               ;   in Loop: Header=BB34_3 Depth=1
	v_bfe_u32 v16, v5, 16, 1
	s_delay_alu instid0(VALU_DEP_1)
	v_add3_u32 v16, v5, v16, 0x7fff
                                        ; implicit-def: $vgpr5
; %bb.17:                               ;   in Loop: Header=BB34_3 Depth=1
	s_and_not1_saveexec_b32 s0, s0
; %bb.18:                               ;   in Loop: Header=BB34_3 Depth=1
	v_and_b32_e32 v16, 0xffff, v5
	v_or_b32_e32 v17, 0x10000, v5
	s_delay_alu instid0(VALU_DEP_2) | instskip(NEXT) | instid1(VALU_DEP_2)
	v_cmp_eq_u32_e32 vcc_lo, 0, v16
	v_cndmask_b32_e32 v16, v17, v5, vcc_lo
; %bb.19:                               ;   in Loop: Header=BB34_3 Depth=1
	s_or_b32 exec_lo, exec_lo, s0
	v_and_b32_e32 v5, 0xffff0000, v15
	s_waitcnt vmcnt(0)
	v_lshlrev_b32_e32 v15, 16, v1
	s_delay_alu instid0(VALU_DEP_1) | instskip(NEXT) | instid1(VALU_DEP_1)
	v_mul_f32_e32 v15, v15, v5
	v_and_b32_e32 v5, 0x7f800000, v15
	s_delay_alu instid0(VALU_DEP_1) | instskip(SKIP_1) | instid1(SALU_CYCLE_1)
	v_cmp_ne_u32_e32 vcc_lo, 0x7f800000, v5
                                        ; implicit-def: $vgpr5
	s_and_saveexec_b32 s0, vcc_lo
	s_xor_b32 s0, exec_lo, s0
; %bb.20:                               ;   in Loop: Header=BB34_3 Depth=1
	v_bfe_u32 v5, v15, 16, 1
	s_delay_alu instid0(VALU_DEP_1)
	v_add3_u32 v5, v15, v5, 0x7fff
                                        ; implicit-def: $vgpr15
; %bb.21:                               ;   in Loop: Header=BB34_3 Depth=1
	s_and_not1_saveexec_b32 s0, s0
; %bb.22:                               ;   in Loop: Header=BB34_3 Depth=1
	v_and_b32_e32 v5, 0xffff, v15
	v_or_b32_e32 v17, 0x10000, v15
	s_delay_alu instid0(VALU_DEP_2) | instskip(NEXT) | instid1(VALU_DEP_2)
	v_cmp_eq_u32_e32 vcc_lo, 0, v5
	v_cndmask_b32_e32 v5, v17, v15, vcc_lo
; %bb.23:                               ;   in Loop: Header=BB34_3 Depth=1
	s_or_b32 exec_lo, exec_lo, s0
	v_and_b32_e32 v15, 0xffff0000, v16
	v_and_b32_e32 v1, 0xffff0000, v1
	s_delay_alu instid0(VALU_DEP_1) | instskip(NEXT) | instid1(VALU_DEP_1)
	v_mul_f32_e32 v15, v1, v15
	v_and_b32_e32 v1, 0x7f800000, v15
	s_delay_alu instid0(VALU_DEP_1) | instskip(SKIP_1) | instid1(SALU_CYCLE_1)
	v_cmp_ne_u32_e32 vcc_lo, 0x7f800000, v1
                                        ; implicit-def: $vgpr1
	s_and_saveexec_b32 s0, vcc_lo
	s_xor_b32 s0, exec_lo, s0
; %bb.24:                               ;   in Loop: Header=BB34_3 Depth=1
	v_bfe_u32 v1, v15, 16, 1
	s_delay_alu instid0(VALU_DEP_1)
	v_add3_u32 v1, v15, v1, 0x7fff
                                        ; implicit-def: $vgpr15
; %bb.25:                               ;   in Loop: Header=BB34_3 Depth=1
	s_and_not1_saveexec_b32 s0, s0
; %bb.26:                               ;   in Loop: Header=BB34_3 Depth=1
	v_and_b32_e32 v1, 0xffff, v15
	v_or_b32_e32 v16, 0x10000, v15
	s_delay_alu instid0(VALU_DEP_2) | instskip(NEXT) | instid1(VALU_DEP_2)
	v_cmp_eq_u32_e32 vcc_lo, 0, v1
	v_cndmask_b32_e32 v1, v16, v15, vcc_lo
; %bb.27:                               ;   in Loop: Header=BB34_3 Depth=1
	s_or_b32 exec_lo, exec_lo, s0
	v_lshlrev_b32_e32 v15, 16, v6
                                        ; implicit-def: $vgpr18
	s_delay_alu instid0(VALU_DEP_1) | instskip(NEXT) | instid1(VALU_DEP_1)
	v_mul_f32_e32 v16, 0x3f3504f3, v15
	v_cmp_nlt_f32_e64 s0, |v16|, 1.0
	s_delay_alu instid0(VALU_DEP_1) | instskip(NEXT) | instid1(SALU_CYCLE_1)
	s_and_saveexec_b32 s9, s0
	s_xor_b32 s0, exec_lo, s9
	s_cbranch_execz .LBB34_29
; %bb.28:                               ;   in Loop: Header=BB34_3 Depth=1
	v_fma_f32 v17, |v16|, s7, 0xb9c68948
	s_delay_alu instid0(VALU_DEP_1) | instskip(NEXT) | instid1(VALU_DEP_1)
	v_fma_f32 v17, |v16|, v17, 0x3b7cd369
	v_fma_f32 v17, |v16|, v17, 0xbcc618b2
	s_delay_alu instid0(VALU_DEP_1) | instskip(NEXT) | instid1(VALU_DEP_1)
	v_fma_f32 v17, |v16|, v17, 0x3dda74e4
	;; [unrolled: 3-line block ×3, first 2 shown]
	v_fma_f32 v17, |v16|, v17, |v16|
	s_delay_alu instid0(VALU_DEP_1) | instskip(SKIP_1) | instid1(VALU_DEP_2)
	v_mul_f32_e32 v18, 0xbfb8aa3b, v17
	v_cmp_nlt_f32_e32 vcc_lo, 0x42ce8ed0, v17
	v_fma_f32 v19, 0xbfb8aa3b, v17, -v18
	v_rndne_f32_e32 v20, v18
	s_delay_alu instid0(VALU_DEP_1) | instskip(NEXT) | instid1(VALU_DEP_1)
	v_dual_fmac_f32 v19, 0xb2a5705f, v17 :: v_dual_sub_f32 v18, v18, v20
	v_add_f32_e32 v18, v18, v19
	v_cvt_i32_f32_e32 v19, v20
	s_delay_alu instid0(VALU_DEP_2) | instskip(SKIP_2) | instid1(VALU_DEP_1)
	v_exp_f32_e32 v18, v18
	s_waitcnt_depctr 0xfff
	v_ldexp_f32 v18, v18, v19
	v_cndmask_b32_e32 v18, 0, v18, vcc_lo
	v_cmp_ngt_f32_e32 vcc_lo, 0xc2b17218, v17
	s_delay_alu instid0(VALU_DEP_2) | instskip(NEXT) | instid1(VALU_DEP_1)
	v_cndmask_b32_e32 v17, 0x7f800000, v18, vcc_lo
	v_sub_f32_e32 v18, 1.0, v17
.LBB34_29:                              ;   in Loop: Header=BB34_3 Depth=1
	s_and_not1_saveexec_b32 s0, s0
; %bb.30:                               ;   in Loop: Header=BB34_3 Depth=1
	v_mul_f32_e32 v17, v16, v16
	s_delay_alu instid0(VALU_DEP_1) | instskip(NEXT) | instid1(VALU_DEP_1)
	v_fmaak_f32 v18, s8, v17, 0x3ba10414
	v_fmaak_f32 v18, v17, v18, 0xbcdac9b8
	s_delay_alu instid0(VALU_DEP_1) | instskip(NEXT) | instid1(VALU_DEP_1)
	v_fmaak_f32 v18, v17, v18, 0x3de703be
	v_fmaak_f32 v18, v17, v18, 0xbec09330
	s_delay_alu instid0(VALU_DEP_1) | instskip(NEXT) | instid1(VALU_DEP_1)
	v_fmaak_f32 v17, v17, v18, 0x3e0375d0
	v_fma_f32 v18, |v16|, v17, |v16|
; %bb.31:                               ;   in Loop: Header=BB34_3 Depth=1
	s_or_b32 exec_lo, exec_lo, s0
	v_and_b32_e32 v6, 0xffff0000, v6
                                        ; implicit-def: $vgpr19
	s_delay_alu instid0(VALU_DEP_1) | instskip(NEXT) | instid1(VALU_DEP_1)
	v_mul_f32_e32 v17, 0x3f3504f3, v6
	v_cmp_nlt_f32_e64 s0, |v17|, 1.0
	s_delay_alu instid0(VALU_DEP_1) | instskip(NEXT) | instid1(SALU_CYCLE_1)
	s_and_saveexec_b32 s9, s0
	s_xor_b32 s0, exec_lo, s9
	s_cbranch_execz .LBB34_33
; %bb.32:                               ;   in Loop: Header=BB34_3 Depth=1
	v_fma_f32 v19, |v17|, s7, 0xb9c68948
	s_delay_alu instid0(VALU_DEP_1) | instskip(NEXT) | instid1(VALU_DEP_1)
	v_fma_f32 v19, |v17|, v19, 0x3b7cd369
	v_fma_f32 v19, |v17|, v19, 0xbcc618b2
	s_delay_alu instid0(VALU_DEP_1) | instskip(NEXT) | instid1(VALU_DEP_1)
	v_fma_f32 v19, |v17|, v19, 0x3dda74e4
	;; [unrolled: 3-line block ×3, first 2 shown]
	v_fma_f32 v19, |v17|, v19, |v17|
	s_delay_alu instid0(VALU_DEP_1) | instskip(SKIP_1) | instid1(VALU_DEP_2)
	v_mul_f32_e32 v20, 0xbfb8aa3b, v19
	v_cmp_nlt_f32_e32 vcc_lo, 0x42ce8ed0, v19
	v_fma_f32 v21, 0xbfb8aa3b, v19, -v20
	v_rndne_f32_e32 v22, v20
	s_delay_alu instid0(VALU_DEP_1) | instskip(NEXT) | instid1(VALU_DEP_1)
	v_dual_fmac_f32 v21, 0xb2a5705f, v19 :: v_dual_sub_f32 v20, v20, v22
	v_add_f32_e32 v20, v20, v21
	v_cvt_i32_f32_e32 v21, v22
	s_delay_alu instid0(VALU_DEP_2) | instskip(SKIP_2) | instid1(VALU_DEP_1)
	v_exp_f32_e32 v20, v20
	s_waitcnt_depctr 0xfff
	v_ldexp_f32 v20, v20, v21
	v_cndmask_b32_e32 v20, 0, v20, vcc_lo
	v_cmp_ngt_f32_e32 vcc_lo, 0xc2b17218, v19
	s_delay_alu instid0(VALU_DEP_2) | instskip(NEXT) | instid1(VALU_DEP_1)
	v_cndmask_b32_e32 v19, 0x7f800000, v20, vcc_lo
	v_sub_f32_e32 v19, 1.0, v19
.LBB34_33:                              ;   in Loop: Header=BB34_3 Depth=1
	s_and_not1_saveexec_b32 s0, s0
; %bb.34:                               ;   in Loop: Header=BB34_3 Depth=1
	v_mul_f32_e32 v19, v17, v17
	s_delay_alu instid0(VALU_DEP_1) | instskip(NEXT) | instid1(VALU_DEP_1)
	v_fmaak_f32 v20, s8, v19, 0x3ba10414
	v_fmaak_f32 v20, v19, v20, 0xbcdac9b8
	s_delay_alu instid0(VALU_DEP_1) | instskip(NEXT) | instid1(VALU_DEP_1)
	v_fmaak_f32 v20, v19, v20, 0x3de703be
	v_fmaak_f32 v20, v19, v20, 0xbec09330
	s_delay_alu instid0(VALU_DEP_1) | instskip(NEXT) | instid1(VALU_DEP_1)
	v_fmaak_f32 v19, v19, v20, 0x3e0375d0
	v_fma_f32 v19, |v17|, v19, |v17|
; %bb.35:                               ;   in Loop: Header=BB34_3 Depth=1
	s_or_b32 exec_lo, exec_lo, s0
	v_bfi_b32 v16, 0x7fffffff, v18, v16
	s_delay_alu instid0(VALU_DEP_1) | instskip(NEXT) | instid1(VALU_DEP_1)
	v_dual_mul_f32 v15, 0.5, v15 :: v_dual_add_f32 v16, 1.0, v16
	v_mul_f32_e32 v16, v15, v16
	s_delay_alu instid0(VALU_DEP_1) | instskip(NEXT) | instid1(VALU_DEP_1)
	v_and_b32_e32 v15, 0x7f800000, v16
	v_cmp_ne_u32_e32 vcc_lo, 0x7f800000, v15
                                        ; implicit-def: $vgpr15
	s_and_saveexec_b32 s0, vcc_lo
	s_delay_alu instid0(SALU_CYCLE_1)
	s_xor_b32 s0, exec_lo, s0
; %bb.36:                               ;   in Loop: Header=BB34_3 Depth=1
	v_bfe_u32 v15, v16, 16, 1
	s_delay_alu instid0(VALU_DEP_1)
	v_add3_u32 v15, v16, v15, 0x7fff
                                        ; implicit-def: $vgpr16
; %bb.37:                               ;   in Loop: Header=BB34_3 Depth=1
	s_and_not1_saveexec_b32 s0, s0
; %bb.38:                               ;   in Loop: Header=BB34_3 Depth=1
	v_and_b32_e32 v15, 0xffff, v16
	v_or_b32_e32 v18, 0x10000, v16
	s_delay_alu instid0(VALU_DEP_2) | instskip(NEXT) | instid1(VALU_DEP_2)
	v_cmp_eq_u32_e32 vcc_lo, 0, v15
	v_cndmask_b32_e32 v15, v18, v16, vcc_lo
; %bb.39:                               ;   in Loop: Header=BB34_3 Depth=1
	s_or_b32 exec_lo, exec_lo, s0
	v_bfi_b32 v16, 0x7fffffff, v19, v17
	v_mul_f32_e32 v6, 0.5, v6
	s_delay_alu instid0(VALU_DEP_2) | instskip(NEXT) | instid1(VALU_DEP_1)
	v_add_f32_e32 v16, 1.0, v16
	v_mul_f32_e32 v6, v6, v16
	s_delay_alu instid0(VALU_DEP_1) | instskip(NEXT) | instid1(VALU_DEP_1)
	v_and_b32_e32 v16, 0x7f800000, v6
	v_cmp_ne_u32_e32 vcc_lo, 0x7f800000, v16
                                        ; implicit-def: $vgpr16
	s_and_saveexec_b32 s0, vcc_lo
	s_delay_alu instid0(SALU_CYCLE_1)
	s_xor_b32 s0, exec_lo, s0
; %bb.40:                               ;   in Loop: Header=BB34_3 Depth=1
	v_bfe_u32 v16, v6, 16, 1
	s_delay_alu instid0(VALU_DEP_1)
	v_add3_u32 v16, v6, v16, 0x7fff
                                        ; implicit-def: $vgpr6
; %bb.41:                               ;   in Loop: Header=BB34_3 Depth=1
	s_and_not1_saveexec_b32 s0, s0
; %bb.42:                               ;   in Loop: Header=BB34_3 Depth=1
	v_and_b32_e32 v16, 0xffff, v6
	v_or_b32_e32 v17, 0x10000, v6
	s_delay_alu instid0(VALU_DEP_2) | instskip(NEXT) | instid1(VALU_DEP_2)
	v_cmp_eq_u32_e32 vcc_lo, 0, v16
	v_cndmask_b32_e32 v16, v17, v6, vcc_lo
; %bb.43:                               ;   in Loop: Header=BB34_3 Depth=1
	s_or_b32 exec_lo, exec_lo, s0
	v_and_b32_e32 v6, 0xffff0000, v15
	v_lshlrev_b32_e32 v15, 16, v2
	s_delay_alu instid0(VALU_DEP_1) | instskip(NEXT) | instid1(VALU_DEP_1)
	v_mul_f32_e32 v15, v15, v6
	v_and_b32_e32 v6, 0x7f800000, v15
	s_delay_alu instid0(VALU_DEP_1) | instskip(SKIP_1) | instid1(SALU_CYCLE_1)
	v_cmp_ne_u32_e32 vcc_lo, 0x7f800000, v6
                                        ; implicit-def: $vgpr6
	s_and_saveexec_b32 s0, vcc_lo
	s_xor_b32 s0, exec_lo, s0
; %bb.44:                               ;   in Loop: Header=BB34_3 Depth=1
	v_bfe_u32 v6, v15, 16, 1
	s_delay_alu instid0(VALU_DEP_1)
	v_add3_u32 v6, v15, v6, 0x7fff
                                        ; implicit-def: $vgpr15
; %bb.45:                               ;   in Loop: Header=BB34_3 Depth=1
	s_and_not1_saveexec_b32 s0, s0
; %bb.46:                               ;   in Loop: Header=BB34_3 Depth=1
	v_and_b32_e32 v6, 0xffff, v15
	v_or_b32_e32 v17, 0x10000, v15
	s_delay_alu instid0(VALU_DEP_2) | instskip(NEXT) | instid1(VALU_DEP_2)
	v_cmp_eq_u32_e32 vcc_lo, 0, v6
	v_cndmask_b32_e32 v6, v17, v15, vcc_lo
; %bb.47:                               ;   in Loop: Header=BB34_3 Depth=1
	s_or_b32 exec_lo, exec_lo, s0
	v_and_b32_e32 v15, 0xffff0000, v16
	v_and_b32_e32 v2, 0xffff0000, v2
	s_delay_alu instid0(VALU_DEP_1) | instskip(NEXT) | instid1(VALU_DEP_1)
	v_mul_f32_e32 v15, v2, v15
	v_and_b32_e32 v2, 0x7f800000, v15
	s_delay_alu instid0(VALU_DEP_1) | instskip(SKIP_1) | instid1(SALU_CYCLE_1)
	v_cmp_ne_u32_e32 vcc_lo, 0x7f800000, v2
                                        ; implicit-def: $vgpr2
	s_and_saveexec_b32 s0, vcc_lo
	s_xor_b32 s0, exec_lo, s0
; %bb.48:                               ;   in Loop: Header=BB34_3 Depth=1
	v_bfe_u32 v2, v15, 16, 1
	s_delay_alu instid0(VALU_DEP_1)
	v_add3_u32 v2, v15, v2, 0x7fff
                                        ; implicit-def: $vgpr15
; %bb.49:                               ;   in Loop: Header=BB34_3 Depth=1
	s_and_not1_saveexec_b32 s0, s0
; %bb.50:                               ;   in Loop: Header=BB34_3 Depth=1
	v_and_b32_e32 v2, 0xffff, v15
	v_or_b32_e32 v16, 0x10000, v15
	s_delay_alu instid0(VALU_DEP_2) | instskip(NEXT) | instid1(VALU_DEP_2)
	v_cmp_eq_u32_e32 vcc_lo, 0, v2
	v_cndmask_b32_e32 v2, v16, v15, vcc_lo
; %bb.51:                               ;   in Loop: Header=BB34_3 Depth=1
	s_or_b32 exec_lo, exec_lo, s0
	v_lshlrev_b32_e32 v15, 16, v7
                                        ; implicit-def: $vgpr18
	s_delay_alu instid0(VALU_DEP_1) | instskip(NEXT) | instid1(VALU_DEP_1)
	v_mul_f32_e32 v16, 0x3f3504f3, v15
	v_cmp_nlt_f32_e64 s0, |v16|, 1.0
	s_delay_alu instid0(VALU_DEP_1) | instskip(NEXT) | instid1(SALU_CYCLE_1)
	s_and_saveexec_b32 s9, s0
	s_xor_b32 s0, exec_lo, s9
	s_cbranch_execz .LBB34_53
; %bb.52:                               ;   in Loop: Header=BB34_3 Depth=1
	v_fma_f32 v17, |v16|, s7, 0xb9c68948
	s_delay_alu instid0(VALU_DEP_1) | instskip(NEXT) | instid1(VALU_DEP_1)
	v_fma_f32 v17, |v16|, v17, 0x3b7cd369
	v_fma_f32 v17, |v16|, v17, 0xbcc618b2
	s_delay_alu instid0(VALU_DEP_1) | instskip(NEXT) | instid1(VALU_DEP_1)
	v_fma_f32 v17, |v16|, v17, 0x3dda74e4
	;; [unrolled: 3-line block ×3, first 2 shown]
	v_fma_f32 v17, |v16|, v17, |v16|
	s_delay_alu instid0(VALU_DEP_1) | instskip(SKIP_1) | instid1(VALU_DEP_2)
	v_mul_f32_e32 v18, 0xbfb8aa3b, v17
	v_cmp_nlt_f32_e32 vcc_lo, 0x42ce8ed0, v17
	v_fma_f32 v19, 0xbfb8aa3b, v17, -v18
	v_rndne_f32_e32 v20, v18
	s_delay_alu instid0(VALU_DEP_1) | instskip(NEXT) | instid1(VALU_DEP_1)
	v_dual_fmac_f32 v19, 0xb2a5705f, v17 :: v_dual_sub_f32 v18, v18, v20
	v_add_f32_e32 v18, v18, v19
	v_cvt_i32_f32_e32 v19, v20
	s_delay_alu instid0(VALU_DEP_2) | instskip(SKIP_2) | instid1(VALU_DEP_1)
	v_exp_f32_e32 v18, v18
	s_waitcnt_depctr 0xfff
	v_ldexp_f32 v18, v18, v19
	v_cndmask_b32_e32 v18, 0, v18, vcc_lo
	v_cmp_ngt_f32_e32 vcc_lo, 0xc2b17218, v17
	s_delay_alu instid0(VALU_DEP_2) | instskip(NEXT) | instid1(VALU_DEP_1)
	v_cndmask_b32_e32 v17, 0x7f800000, v18, vcc_lo
	v_sub_f32_e32 v18, 1.0, v17
.LBB34_53:                              ;   in Loop: Header=BB34_3 Depth=1
	s_and_not1_saveexec_b32 s0, s0
; %bb.54:                               ;   in Loop: Header=BB34_3 Depth=1
	v_mul_f32_e32 v17, v16, v16
	s_delay_alu instid0(VALU_DEP_1) | instskip(NEXT) | instid1(VALU_DEP_1)
	v_fmaak_f32 v18, s8, v17, 0x3ba10414
	v_fmaak_f32 v18, v17, v18, 0xbcdac9b8
	s_delay_alu instid0(VALU_DEP_1) | instskip(NEXT) | instid1(VALU_DEP_1)
	v_fmaak_f32 v18, v17, v18, 0x3de703be
	v_fmaak_f32 v18, v17, v18, 0xbec09330
	s_delay_alu instid0(VALU_DEP_1) | instskip(NEXT) | instid1(VALU_DEP_1)
	v_fmaak_f32 v17, v17, v18, 0x3e0375d0
	v_fma_f32 v18, |v16|, v17, |v16|
; %bb.55:                               ;   in Loop: Header=BB34_3 Depth=1
	s_or_b32 exec_lo, exec_lo, s0
	v_and_b32_e32 v7, 0xffff0000, v7
                                        ; implicit-def: $vgpr19
	s_delay_alu instid0(VALU_DEP_1) | instskip(NEXT) | instid1(VALU_DEP_1)
	v_mul_f32_e32 v17, 0x3f3504f3, v7
	v_cmp_nlt_f32_e64 s0, |v17|, 1.0
	s_delay_alu instid0(VALU_DEP_1) | instskip(NEXT) | instid1(SALU_CYCLE_1)
	s_and_saveexec_b32 s9, s0
	s_xor_b32 s0, exec_lo, s9
	s_cbranch_execz .LBB34_57
; %bb.56:                               ;   in Loop: Header=BB34_3 Depth=1
	v_fma_f32 v19, |v17|, s7, 0xb9c68948
	s_delay_alu instid0(VALU_DEP_1) | instskip(NEXT) | instid1(VALU_DEP_1)
	v_fma_f32 v19, |v17|, v19, 0x3b7cd369
	v_fma_f32 v19, |v17|, v19, 0xbcc618b2
	s_delay_alu instid0(VALU_DEP_1) | instskip(NEXT) | instid1(VALU_DEP_1)
	v_fma_f32 v19, |v17|, v19, 0x3dda74e4
	;; [unrolled: 3-line block ×3, first 2 shown]
	v_fma_f32 v19, |v17|, v19, |v17|
	s_delay_alu instid0(VALU_DEP_1) | instskip(SKIP_1) | instid1(VALU_DEP_2)
	v_mul_f32_e32 v20, 0xbfb8aa3b, v19
	v_cmp_nlt_f32_e32 vcc_lo, 0x42ce8ed0, v19
	v_fma_f32 v21, 0xbfb8aa3b, v19, -v20
	v_rndne_f32_e32 v22, v20
	s_delay_alu instid0(VALU_DEP_1) | instskip(NEXT) | instid1(VALU_DEP_1)
	v_dual_fmac_f32 v21, 0xb2a5705f, v19 :: v_dual_sub_f32 v20, v20, v22
	v_add_f32_e32 v20, v20, v21
	v_cvt_i32_f32_e32 v21, v22
	s_delay_alu instid0(VALU_DEP_2) | instskip(SKIP_2) | instid1(VALU_DEP_1)
	v_exp_f32_e32 v20, v20
	s_waitcnt_depctr 0xfff
	v_ldexp_f32 v20, v20, v21
	v_cndmask_b32_e32 v20, 0, v20, vcc_lo
	v_cmp_ngt_f32_e32 vcc_lo, 0xc2b17218, v19
	s_delay_alu instid0(VALU_DEP_2) | instskip(NEXT) | instid1(VALU_DEP_1)
	v_cndmask_b32_e32 v19, 0x7f800000, v20, vcc_lo
	v_sub_f32_e32 v19, 1.0, v19
.LBB34_57:                              ;   in Loop: Header=BB34_3 Depth=1
	s_and_not1_saveexec_b32 s0, s0
; %bb.58:                               ;   in Loop: Header=BB34_3 Depth=1
	v_mul_f32_e32 v19, v17, v17
	s_delay_alu instid0(VALU_DEP_1) | instskip(NEXT) | instid1(VALU_DEP_1)
	v_fmaak_f32 v20, s8, v19, 0x3ba10414
	v_fmaak_f32 v20, v19, v20, 0xbcdac9b8
	s_delay_alu instid0(VALU_DEP_1) | instskip(NEXT) | instid1(VALU_DEP_1)
	v_fmaak_f32 v20, v19, v20, 0x3de703be
	v_fmaak_f32 v20, v19, v20, 0xbec09330
	s_delay_alu instid0(VALU_DEP_1) | instskip(NEXT) | instid1(VALU_DEP_1)
	v_fmaak_f32 v19, v19, v20, 0x3e0375d0
	v_fma_f32 v19, |v17|, v19, |v17|
; %bb.59:                               ;   in Loop: Header=BB34_3 Depth=1
	s_or_b32 exec_lo, exec_lo, s0
	v_bfi_b32 v16, 0x7fffffff, v18, v16
	s_delay_alu instid0(VALU_DEP_1) | instskip(NEXT) | instid1(VALU_DEP_1)
	v_dual_mul_f32 v15, 0.5, v15 :: v_dual_add_f32 v16, 1.0, v16
	v_mul_f32_e32 v16, v15, v16
	s_delay_alu instid0(VALU_DEP_1) | instskip(NEXT) | instid1(VALU_DEP_1)
	v_and_b32_e32 v15, 0x7f800000, v16
	v_cmp_ne_u32_e32 vcc_lo, 0x7f800000, v15
                                        ; implicit-def: $vgpr15
	s_and_saveexec_b32 s0, vcc_lo
	s_delay_alu instid0(SALU_CYCLE_1)
	s_xor_b32 s0, exec_lo, s0
; %bb.60:                               ;   in Loop: Header=BB34_3 Depth=1
	v_bfe_u32 v15, v16, 16, 1
	s_delay_alu instid0(VALU_DEP_1)
	v_add3_u32 v15, v16, v15, 0x7fff
                                        ; implicit-def: $vgpr16
; %bb.61:                               ;   in Loop: Header=BB34_3 Depth=1
	s_and_not1_saveexec_b32 s0, s0
; %bb.62:                               ;   in Loop: Header=BB34_3 Depth=1
	v_and_b32_e32 v15, 0xffff, v16
	v_or_b32_e32 v18, 0x10000, v16
	s_delay_alu instid0(VALU_DEP_2) | instskip(NEXT) | instid1(VALU_DEP_2)
	v_cmp_eq_u32_e32 vcc_lo, 0, v15
	v_cndmask_b32_e32 v15, v18, v16, vcc_lo
; %bb.63:                               ;   in Loop: Header=BB34_3 Depth=1
	s_or_b32 exec_lo, exec_lo, s0
	v_bfi_b32 v16, 0x7fffffff, v19, v17
	s_delay_alu instid0(VALU_DEP_1) | instskip(NEXT) | instid1(VALU_DEP_1)
	v_dual_mul_f32 v7, 0.5, v7 :: v_dual_add_f32 v16, 1.0, v16
	v_mul_f32_e32 v7, v7, v16
	s_delay_alu instid0(VALU_DEP_1) | instskip(NEXT) | instid1(VALU_DEP_1)
	v_and_b32_e32 v16, 0x7f800000, v7
	v_cmp_ne_u32_e32 vcc_lo, 0x7f800000, v16
                                        ; implicit-def: $vgpr16
	s_and_saveexec_b32 s0, vcc_lo
	s_delay_alu instid0(SALU_CYCLE_1)
	s_xor_b32 s0, exec_lo, s0
; %bb.64:                               ;   in Loop: Header=BB34_3 Depth=1
	v_bfe_u32 v16, v7, 16, 1
	s_delay_alu instid0(VALU_DEP_1)
	v_add3_u32 v16, v7, v16, 0x7fff
                                        ; implicit-def: $vgpr7
; %bb.65:                               ;   in Loop: Header=BB34_3 Depth=1
	s_and_not1_saveexec_b32 s0, s0
; %bb.66:                               ;   in Loop: Header=BB34_3 Depth=1
	v_and_b32_e32 v16, 0xffff, v7
	v_or_b32_e32 v17, 0x10000, v7
	s_delay_alu instid0(VALU_DEP_2) | instskip(NEXT) | instid1(VALU_DEP_2)
	v_cmp_eq_u32_e32 vcc_lo, 0, v16
	v_cndmask_b32_e32 v16, v17, v7, vcc_lo
; %bb.67:                               ;   in Loop: Header=BB34_3 Depth=1
	s_or_b32 exec_lo, exec_lo, s0
	v_and_b32_e32 v7, 0xffff0000, v15
	v_lshlrev_b32_e32 v15, 16, v3
	s_delay_alu instid0(VALU_DEP_1) | instskip(NEXT) | instid1(VALU_DEP_1)
	v_mul_f32_e32 v15, v15, v7
	v_and_b32_e32 v7, 0x7f800000, v15
	s_delay_alu instid0(VALU_DEP_1) | instskip(SKIP_1) | instid1(SALU_CYCLE_1)
	v_cmp_ne_u32_e32 vcc_lo, 0x7f800000, v7
                                        ; implicit-def: $vgpr7
	s_and_saveexec_b32 s0, vcc_lo
	s_xor_b32 s0, exec_lo, s0
; %bb.68:                               ;   in Loop: Header=BB34_3 Depth=1
	v_bfe_u32 v7, v15, 16, 1
	s_delay_alu instid0(VALU_DEP_1)
	v_add3_u32 v7, v15, v7, 0x7fff
                                        ; implicit-def: $vgpr15
; %bb.69:                               ;   in Loop: Header=BB34_3 Depth=1
	s_and_not1_saveexec_b32 s0, s0
; %bb.70:                               ;   in Loop: Header=BB34_3 Depth=1
	v_and_b32_e32 v7, 0xffff, v15
	v_or_b32_e32 v17, 0x10000, v15
	s_delay_alu instid0(VALU_DEP_2) | instskip(NEXT) | instid1(VALU_DEP_2)
	v_cmp_eq_u32_e32 vcc_lo, 0, v7
	v_cndmask_b32_e32 v7, v17, v15, vcc_lo
; %bb.71:                               ;   in Loop: Header=BB34_3 Depth=1
	s_or_b32 exec_lo, exec_lo, s0
	v_and_b32_e32 v15, 0xffff0000, v16
	v_and_b32_e32 v3, 0xffff0000, v3
	s_delay_alu instid0(VALU_DEP_1) | instskip(NEXT) | instid1(VALU_DEP_1)
	v_mul_f32_e32 v15, v3, v15
	v_and_b32_e32 v3, 0x7f800000, v15
	s_delay_alu instid0(VALU_DEP_1) | instskip(SKIP_1) | instid1(SALU_CYCLE_1)
	v_cmp_ne_u32_e32 vcc_lo, 0x7f800000, v3
                                        ; implicit-def: $vgpr3
	s_and_saveexec_b32 s0, vcc_lo
	s_xor_b32 s0, exec_lo, s0
; %bb.72:                               ;   in Loop: Header=BB34_3 Depth=1
	v_bfe_u32 v3, v15, 16, 1
	s_delay_alu instid0(VALU_DEP_1)
	v_add3_u32 v3, v15, v3, 0x7fff
                                        ; implicit-def: $vgpr15
; %bb.73:                               ;   in Loop: Header=BB34_3 Depth=1
	s_and_not1_saveexec_b32 s0, s0
; %bb.74:                               ;   in Loop: Header=BB34_3 Depth=1
	v_and_b32_e32 v3, 0xffff, v15
	v_or_b32_e32 v16, 0x10000, v15
	s_delay_alu instid0(VALU_DEP_2) | instskip(NEXT) | instid1(VALU_DEP_2)
	v_cmp_eq_u32_e32 vcc_lo, 0, v3
	v_cndmask_b32_e32 v3, v16, v15, vcc_lo
; %bb.75:                               ;   in Loop: Header=BB34_3 Depth=1
	s_or_b32 exec_lo, exec_lo, s0
	v_lshlrev_b32_e32 v15, 16, v8
                                        ; implicit-def: $vgpr18
	s_delay_alu instid0(VALU_DEP_1) | instskip(NEXT) | instid1(VALU_DEP_1)
	v_mul_f32_e32 v16, 0x3f3504f3, v15
	v_cmp_nlt_f32_e64 s0, |v16|, 1.0
	s_delay_alu instid0(VALU_DEP_1) | instskip(NEXT) | instid1(SALU_CYCLE_1)
	s_and_saveexec_b32 s9, s0
	s_xor_b32 s0, exec_lo, s9
	s_cbranch_execz .LBB34_77
; %bb.76:                               ;   in Loop: Header=BB34_3 Depth=1
	v_fma_f32 v17, |v16|, s7, 0xb9c68948
	s_delay_alu instid0(VALU_DEP_1) | instskip(NEXT) | instid1(VALU_DEP_1)
	v_fma_f32 v17, |v16|, v17, 0x3b7cd369
	v_fma_f32 v17, |v16|, v17, 0xbcc618b2
	s_delay_alu instid0(VALU_DEP_1) | instskip(NEXT) | instid1(VALU_DEP_1)
	v_fma_f32 v17, |v16|, v17, 0x3dda74e4
	;; [unrolled: 3-line block ×3, first 2 shown]
	v_fma_f32 v17, |v16|, v17, |v16|
	s_delay_alu instid0(VALU_DEP_1) | instskip(SKIP_1) | instid1(VALU_DEP_2)
	v_mul_f32_e32 v18, 0xbfb8aa3b, v17
	v_cmp_nlt_f32_e32 vcc_lo, 0x42ce8ed0, v17
	v_fma_f32 v19, 0xbfb8aa3b, v17, -v18
	v_rndne_f32_e32 v20, v18
	s_delay_alu instid0(VALU_DEP_1) | instskip(NEXT) | instid1(VALU_DEP_1)
	v_dual_fmac_f32 v19, 0xb2a5705f, v17 :: v_dual_sub_f32 v18, v18, v20
	v_add_f32_e32 v18, v18, v19
	v_cvt_i32_f32_e32 v19, v20
	s_delay_alu instid0(VALU_DEP_2) | instskip(SKIP_2) | instid1(VALU_DEP_1)
	v_exp_f32_e32 v18, v18
	s_waitcnt_depctr 0xfff
	v_ldexp_f32 v18, v18, v19
	v_cndmask_b32_e32 v18, 0, v18, vcc_lo
	v_cmp_ngt_f32_e32 vcc_lo, 0xc2b17218, v17
	s_delay_alu instid0(VALU_DEP_2) | instskip(NEXT) | instid1(VALU_DEP_1)
	v_cndmask_b32_e32 v17, 0x7f800000, v18, vcc_lo
	v_sub_f32_e32 v18, 1.0, v17
.LBB34_77:                              ;   in Loop: Header=BB34_3 Depth=1
	s_and_not1_saveexec_b32 s0, s0
; %bb.78:                               ;   in Loop: Header=BB34_3 Depth=1
	v_mul_f32_e32 v17, v16, v16
	s_delay_alu instid0(VALU_DEP_1) | instskip(NEXT) | instid1(VALU_DEP_1)
	v_fmaak_f32 v18, s8, v17, 0x3ba10414
	v_fmaak_f32 v18, v17, v18, 0xbcdac9b8
	s_delay_alu instid0(VALU_DEP_1) | instskip(NEXT) | instid1(VALU_DEP_1)
	v_fmaak_f32 v18, v17, v18, 0x3de703be
	v_fmaak_f32 v18, v17, v18, 0xbec09330
	s_delay_alu instid0(VALU_DEP_1) | instskip(NEXT) | instid1(VALU_DEP_1)
	v_fmaak_f32 v17, v17, v18, 0x3e0375d0
	v_fma_f32 v18, |v16|, v17, |v16|
; %bb.79:                               ;   in Loop: Header=BB34_3 Depth=1
	s_or_b32 exec_lo, exec_lo, s0
	v_and_b32_e32 v8, 0xffff0000, v8
                                        ; implicit-def: $vgpr19
	s_delay_alu instid0(VALU_DEP_1) | instskip(NEXT) | instid1(VALU_DEP_1)
	v_mul_f32_e32 v17, 0x3f3504f3, v8
	v_cmp_nlt_f32_e64 s0, |v17|, 1.0
	s_delay_alu instid0(VALU_DEP_1) | instskip(NEXT) | instid1(SALU_CYCLE_1)
	s_and_saveexec_b32 s9, s0
	s_xor_b32 s0, exec_lo, s9
	s_cbranch_execz .LBB34_81
; %bb.80:                               ;   in Loop: Header=BB34_3 Depth=1
	v_fma_f32 v19, |v17|, s7, 0xb9c68948
	s_delay_alu instid0(VALU_DEP_1) | instskip(NEXT) | instid1(VALU_DEP_1)
	v_fma_f32 v19, |v17|, v19, 0x3b7cd369
	v_fma_f32 v19, |v17|, v19, 0xbcc618b2
	s_delay_alu instid0(VALU_DEP_1) | instskip(NEXT) | instid1(VALU_DEP_1)
	v_fma_f32 v19, |v17|, v19, 0x3dda74e4
	;; [unrolled: 3-line block ×3, first 2 shown]
	v_fma_f32 v19, |v17|, v19, |v17|
	s_delay_alu instid0(VALU_DEP_1) | instskip(SKIP_1) | instid1(VALU_DEP_2)
	v_mul_f32_e32 v20, 0xbfb8aa3b, v19
	v_cmp_nlt_f32_e32 vcc_lo, 0x42ce8ed0, v19
	v_fma_f32 v21, 0xbfb8aa3b, v19, -v20
	v_rndne_f32_e32 v22, v20
	s_delay_alu instid0(VALU_DEP_1) | instskip(NEXT) | instid1(VALU_DEP_1)
	v_dual_fmac_f32 v21, 0xb2a5705f, v19 :: v_dual_sub_f32 v20, v20, v22
	v_add_f32_e32 v20, v20, v21
	v_cvt_i32_f32_e32 v21, v22
	s_delay_alu instid0(VALU_DEP_2) | instskip(SKIP_2) | instid1(VALU_DEP_1)
	v_exp_f32_e32 v20, v20
	s_waitcnt_depctr 0xfff
	v_ldexp_f32 v20, v20, v21
	v_cndmask_b32_e32 v20, 0, v20, vcc_lo
	v_cmp_ngt_f32_e32 vcc_lo, 0xc2b17218, v19
	s_delay_alu instid0(VALU_DEP_2) | instskip(NEXT) | instid1(VALU_DEP_1)
	v_cndmask_b32_e32 v19, 0x7f800000, v20, vcc_lo
	v_sub_f32_e32 v19, 1.0, v19
.LBB34_81:                              ;   in Loop: Header=BB34_3 Depth=1
	s_and_not1_saveexec_b32 s0, s0
; %bb.82:                               ;   in Loop: Header=BB34_3 Depth=1
	v_mul_f32_e32 v19, v17, v17
	s_delay_alu instid0(VALU_DEP_1) | instskip(NEXT) | instid1(VALU_DEP_1)
	v_fmaak_f32 v20, s8, v19, 0x3ba10414
	v_fmaak_f32 v20, v19, v20, 0xbcdac9b8
	s_delay_alu instid0(VALU_DEP_1) | instskip(NEXT) | instid1(VALU_DEP_1)
	v_fmaak_f32 v20, v19, v20, 0x3de703be
	v_fmaak_f32 v20, v19, v20, 0xbec09330
	s_delay_alu instid0(VALU_DEP_1) | instskip(NEXT) | instid1(VALU_DEP_1)
	v_fmaak_f32 v19, v19, v20, 0x3e0375d0
	v_fma_f32 v19, |v17|, v19, |v17|
; %bb.83:                               ;   in Loop: Header=BB34_3 Depth=1
	s_or_b32 exec_lo, exec_lo, s0
	v_bfi_b32 v16, 0x7fffffff, v18, v16
	s_delay_alu instid0(VALU_DEP_1) | instskip(NEXT) | instid1(VALU_DEP_1)
	v_dual_mul_f32 v15, 0.5, v15 :: v_dual_add_f32 v16, 1.0, v16
	v_mul_f32_e32 v16, v15, v16
	s_delay_alu instid0(VALU_DEP_1) | instskip(NEXT) | instid1(VALU_DEP_1)
	v_and_b32_e32 v15, 0x7f800000, v16
	v_cmp_ne_u32_e32 vcc_lo, 0x7f800000, v15
                                        ; implicit-def: $vgpr15
	s_and_saveexec_b32 s0, vcc_lo
	s_delay_alu instid0(SALU_CYCLE_1)
	s_xor_b32 s0, exec_lo, s0
; %bb.84:                               ;   in Loop: Header=BB34_3 Depth=1
	v_bfe_u32 v15, v16, 16, 1
	s_delay_alu instid0(VALU_DEP_1)
	v_add3_u32 v15, v16, v15, 0x7fff
                                        ; implicit-def: $vgpr16
; %bb.85:                               ;   in Loop: Header=BB34_3 Depth=1
	s_and_not1_saveexec_b32 s0, s0
; %bb.86:                               ;   in Loop: Header=BB34_3 Depth=1
	v_and_b32_e32 v15, 0xffff, v16
	v_or_b32_e32 v18, 0x10000, v16
	s_delay_alu instid0(VALU_DEP_2) | instskip(NEXT) | instid1(VALU_DEP_2)
	v_cmp_eq_u32_e32 vcc_lo, 0, v15
	v_cndmask_b32_e32 v15, v18, v16, vcc_lo
; %bb.87:                               ;   in Loop: Header=BB34_3 Depth=1
	s_or_b32 exec_lo, exec_lo, s0
	v_bfi_b32 v16, 0x7fffffff, v19, v17
	v_mul_f32_e32 v8, 0.5, v8
	s_delay_alu instid0(VALU_DEP_2) | instskip(NEXT) | instid1(VALU_DEP_1)
	v_add_f32_e32 v16, 1.0, v16
	v_mul_f32_e32 v8, v8, v16
	s_delay_alu instid0(VALU_DEP_1) | instskip(NEXT) | instid1(VALU_DEP_1)
	v_and_b32_e32 v16, 0x7f800000, v8
	v_cmp_ne_u32_e32 vcc_lo, 0x7f800000, v16
                                        ; implicit-def: $vgpr16
	s_and_saveexec_b32 s0, vcc_lo
	s_delay_alu instid0(SALU_CYCLE_1)
	s_xor_b32 s0, exec_lo, s0
; %bb.88:                               ;   in Loop: Header=BB34_3 Depth=1
	v_bfe_u32 v16, v8, 16, 1
	s_delay_alu instid0(VALU_DEP_1)
	v_add3_u32 v16, v8, v16, 0x7fff
                                        ; implicit-def: $vgpr8
; %bb.89:                               ;   in Loop: Header=BB34_3 Depth=1
	s_and_not1_saveexec_b32 s0, s0
; %bb.90:                               ;   in Loop: Header=BB34_3 Depth=1
	v_and_b32_e32 v16, 0xffff, v8
	v_or_b32_e32 v17, 0x10000, v8
	s_delay_alu instid0(VALU_DEP_2) | instskip(NEXT) | instid1(VALU_DEP_2)
	v_cmp_eq_u32_e32 vcc_lo, 0, v16
	v_cndmask_b32_e32 v16, v17, v8, vcc_lo
; %bb.91:                               ;   in Loop: Header=BB34_3 Depth=1
	s_or_b32 exec_lo, exec_lo, s0
	v_and_b32_e32 v8, 0xffff0000, v15
	v_lshlrev_b32_e32 v15, 16, v4
	s_delay_alu instid0(VALU_DEP_1) | instskip(NEXT) | instid1(VALU_DEP_1)
	v_mul_f32_e32 v15, v15, v8
	v_and_b32_e32 v8, 0x7f800000, v15
	s_delay_alu instid0(VALU_DEP_1) | instskip(SKIP_1) | instid1(SALU_CYCLE_1)
	v_cmp_ne_u32_e32 vcc_lo, 0x7f800000, v8
                                        ; implicit-def: $vgpr8
	s_and_saveexec_b32 s0, vcc_lo
	s_xor_b32 s0, exec_lo, s0
; %bb.92:                               ;   in Loop: Header=BB34_3 Depth=1
	v_bfe_u32 v8, v15, 16, 1
	s_delay_alu instid0(VALU_DEP_1)
	v_add3_u32 v8, v15, v8, 0x7fff
                                        ; implicit-def: $vgpr15
; %bb.93:                               ;   in Loop: Header=BB34_3 Depth=1
	s_and_not1_saveexec_b32 s0, s0
; %bb.94:                               ;   in Loop: Header=BB34_3 Depth=1
	v_and_b32_e32 v8, 0xffff, v15
	v_or_b32_e32 v17, 0x10000, v15
	s_delay_alu instid0(VALU_DEP_2) | instskip(NEXT) | instid1(VALU_DEP_2)
	v_cmp_eq_u32_e32 vcc_lo, 0, v8
	v_cndmask_b32_e32 v8, v17, v15, vcc_lo
; %bb.95:                               ;   in Loop: Header=BB34_3 Depth=1
	s_or_b32 exec_lo, exec_lo, s0
	v_and_b32_e32 v15, 0xffff0000, v16
	v_and_b32_e32 v4, 0xffff0000, v4
	s_delay_alu instid0(VALU_DEP_1) | instskip(NEXT) | instid1(VALU_DEP_1)
	v_mul_f32_e32 v15, v4, v15
	v_and_b32_e32 v4, 0x7f800000, v15
	s_delay_alu instid0(VALU_DEP_1) | instskip(SKIP_1) | instid1(SALU_CYCLE_1)
	v_cmp_ne_u32_e32 vcc_lo, 0x7f800000, v4
                                        ; implicit-def: $vgpr4
	s_and_saveexec_b32 s0, vcc_lo
	s_xor_b32 s0, exec_lo, s0
; %bb.96:                               ;   in Loop: Header=BB34_3 Depth=1
	v_bfe_u32 v4, v15, 16, 1
	s_delay_alu instid0(VALU_DEP_1)
	v_add3_u32 v4, v15, v4, 0x7fff
                                        ; implicit-def: $vgpr15
; %bb.97:                               ;   in Loop: Header=BB34_3 Depth=1
	s_and_not1_saveexec_b32 s0, s0
	s_cbranch_execz .LBB34_2
; %bb.98:                               ;   in Loop: Header=BB34_3 Depth=1
	v_and_b32_e32 v4, 0xffff, v15
	v_or_b32_e32 v16, 0x10000, v15
	s_delay_alu instid0(VALU_DEP_2) | instskip(NEXT) | instid1(VALU_DEP_2)
	v_cmp_eq_u32_e32 vcc_lo, 0, v4
	v_cndmask_b32_e32 v4, v16, v15, vcc_lo
	s_branch .LBB34_2
.LBB34_99:
	s_nop 0
	s_sendmsg sendmsg(MSG_DEALLOC_VGPRS)
	s_endpgm
	.section	.rodata,"a",@progbits
	.p2align	6, 0x0
	.amdhsa_kernel _ZN4vllm18act_and_mul_kernelIN3c108BFloat16E15__hip_bfloat162TnPFT_RKS4_EXadL_ZNS_11gelu_kernelIS2_EES4_S6_EETnPFT0_RKSA_EXadL_ZNS_18packed_gelu_kernelIS3_EES4_S6_EELb1ELb1ELb0ELb0EEEvPS4_PS5_if
		.amdhsa_group_segment_fixed_size 0
		.amdhsa_private_segment_fixed_size 0
		.amdhsa_kernarg_size 280
		.amdhsa_user_sgpr_count 15
		.amdhsa_user_sgpr_dispatch_ptr 0
		.amdhsa_user_sgpr_queue_ptr 0
		.amdhsa_user_sgpr_kernarg_segment_ptr 1
		.amdhsa_user_sgpr_dispatch_id 0
		.amdhsa_user_sgpr_private_segment_size 0
		.amdhsa_wavefront_size32 1
		.amdhsa_uses_dynamic_stack 0
		.amdhsa_enable_private_segment 0
		.amdhsa_system_sgpr_workgroup_id_x 1
		.amdhsa_system_sgpr_workgroup_id_y 0
		.amdhsa_system_sgpr_workgroup_id_z 0
		.amdhsa_system_sgpr_workgroup_info 0
		.amdhsa_system_vgpr_workitem_id 0
		.amdhsa_next_free_vgpr 23
		.amdhsa_next_free_sgpr 16
		.amdhsa_reserve_vcc 1
		.amdhsa_float_round_mode_32 0
		.amdhsa_float_round_mode_16_64 0
		.amdhsa_float_denorm_mode_32 3
		.amdhsa_float_denorm_mode_16_64 3
		.amdhsa_dx10_clamp 1
		.amdhsa_ieee_mode 1
		.amdhsa_fp16_overflow 0
		.amdhsa_workgroup_processor_mode 1
		.amdhsa_memory_ordered 1
		.amdhsa_forward_progress 0
		.amdhsa_shared_vgpr_count 0
		.amdhsa_exception_fp_ieee_invalid_op 0
		.amdhsa_exception_fp_denorm_src 0
		.amdhsa_exception_fp_ieee_div_zero 0
		.amdhsa_exception_fp_ieee_overflow 0
		.amdhsa_exception_fp_ieee_underflow 0
		.amdhsa_exception_fp_ieee_inexact 0
		.amdhsa_exception_int_div_zero 0
	.end_amdhsa_kernel
	.section	.text._ZN4vllm18act_and_mul_kernelIN3c108BFloat16E15__hip_bfloat162TnPFT_RKS4_EXadL_ZNS_11gelu_kernelIS2_EES4_S6_EETnPFT0_RKSA_EXadL_ZNS_18packed_gelu_kernelIS3_EES4_S6_EELb1ELb1ELb0ELb0EEEvPS4_PS5_if,"axG",@progbits,_ZN4vllm18act_and_mul_kernelIN3c108BFloat16E15__hip_bfloat162TnPFT_RKS4_EXadL_ZNS_11gelu_kernelIS2_EES4_S6_EETnPFT0_RKSA_EXadL_ZNS_18packed_gelu_kernelIS3_EES4_S6_EELb1ELb1ELb0ELb0EEEvPS4_PS5_if,comdat
.Lfunc_end34:
	.size	_ZN4vllm18act_and_mul_kernelIN3c108BFloat16E15__hip_bfloat162TnPFT_RKS4_EXadL_ZNS_11gelu_kernelIS2_EES4_S6_EETnPFT0_RKSA_EXadL_ZNS_18packed_gelu_kernelIS3_EES4_S6_EELb1ELb1ELb0ELb0EEEvPS4_PS5_if, .Lfunc_end34-_ZN4vllm18act_and_mul_kernelIN3c108BFloat16E15__hip_bfloat162TnPFT_RKS4_EXadL_ZNS_11gelu_kernelIS2_EES4_S6_EETnPFT0_RKSA_EXadL_ZNS_18packed_gelu_kernelIS3_EES4_S6_EELb1ELb1ELb0ELb0EEEvPS4_PS5_if
                                        ; -- End function
	.section	.AMDGPU.csdata,"",@progbits
; Kernel info:
; codeLenInByte = 4728
; NumSgprs: 18
; NumVgprs: 23
; ScratchSize: 0
; MemoryBound: 0
; FloatMode: 240
; IeeeMode: 1
; LDSByteSize: 0 bytes/workgroup (compile time only)
; SGPRBlocks: 2
; VGPRBlocks: 2
; NumSGPRsForWavesPerEU: 18
; NumVGPRsForWavesPerEU: 23
; Occupancy: 16
; WaveLimiterHint : 0
; COMPUTE_PGM_RSRC2:SCRATCH_EN: 0
; COMPUTE_PGM_RSRC2:USER_SGPR: 15
; COMPUTE_PGM_RSRC2:TRAP_HANDLER: 0
; COMPUTE_PGM_RSRC2:TGID_X_EN: 1
; COMPUTE_PGM_RSRC2:TGID_Y_EN: 0
; COMPUTE_PGM_RSRC2:TGID_Z_EN: 0
; COMPUTE_PGM_RSRC2:TIDIG_COMP_CNT: 0
	.section	.text._ZN4vllm18act_and_mul_kernelIf15HIP_vector_typeIfLj2EETnPFT_RKS3_EXadL_ZNS_11gelu_kernelIfEES3_S5_EETnPFT0_RKS9_EXadL_ZNS_18packed_gelu_kernelIS2_EES3_S5_EELb1ELb0ELb0ELb0EEEvPS3_PS4_if,"axG",@progbits,_ZN4vllm18act_and_mul_kernelIf15HIP_vector_typeIfLj2EETnPFT_RKS3_EXadL_ZNS_11gelu_kernelIfEES3_S5_EETnPFT0_RKS9_EXadL_ZNS_18packed_gelu_kernelIS2_EES3_S5_EELb1ELb0ELb0ELb0EEEvPS3_PS4_if,comdat
	.protected	_ZN4vllm18act_and_mul_kernelIf15HIP_vector_typeIfLj2EETnPFT_RKS3_EXadL_ZNS_11gelu_kernelIfEES3_S5_EETnPFT0_RKS9_EXadL_ZNS_18packed_gelu_kernelIS2_EES3_S5_EELb1ELb0ELb0ELb0EEEvPS3_PS4_if ; -- Begin function _ZN4vllm18act_and_mul_kernelIf15HIP_vector_typeIfLj2EETnPFT_RKS3_EXadL_ZNS_11gelu_kernelIfEES3_S5_EETnPFT0_RKS9_EXadL_ZNS_18packed_gelu_kernelIS2_EES3_S5_EELb1ELb0ELb0ELb0EEEvPS3_PS4_if
	.globl	_ZN4vllm18act_and_mul_kernelIf15HIP_vector_typeIfLj2EETnPFT_RKS3_EXadL_ZNS_11gelu_kernelIfEES3_S5_EETnPFT0_RKS9_EXadL_ZNS_18packed_gelu_kernelIS2_EES3_S5_EELb1ELb0ELb0ELb0EEEvPS3_PS4_if
	.p2align	8
	.type	_ZN4vllm18act_and_mul_kernelIf15HIP_vector_typeIfLj2EETnPFT_RKS3_EXadL_ZNS_11gelu_kernelIfEES3_S5_EETnPFT0_RKS9_EXadL_ZNS_18packed_gelu_kernelIS2_EES3_S5_EELb1ELb0ELb0ELb0EEEvPS3_PS4_if,@function
_ZN4vllm18act_and_mul_kernelIf15HIP_vector_typeIfLj2EETnPFT_RKS3_EXadL_ZNS_11gelu_kernelIfEES3_S5_EETnPFT0_RKS9_EXadL_ZNS_18packed_gelu_kernelIS2_EES3_S5_EELb1ELb0ELb0ELb0EEEvPS3_PS4_if: ; @_ZN4vllm18act_and_mul_kernelIf15HIP_vector_typeIfLj2EETnPFT_RKS3_EXadL_ZNS_11gelu_kernelIfEES3_S5_EETnPFT0_RKS9_EXadL_ZNS_18packed_gelu_kernelIS2_EES3_S5_EELb1ELb0ELb0ELb0EEEvPS3_PS4_if
; %bb.0:
	s_load_b32 s2, s[0:1], 0x10
	s_mov_b32 s3, exec_lo
	s_waitcnt lgkmcnt(0)
	v_cmpx_gt_i32_e64 s2, v0
	s_cbranch_execz .LBB35_7
; %bb.1:
	s_clause 0x1
	s_load_b128 s[8:11], s[0:1], 0x0
	s_load_b32 s14, s[0:1], 0x24
	s_mul_i32 s12, s15, s2
	s_mov_b32 s1, 0
	s_lshl_b32 s0, s12, 1
	v_dual_mov_b32 v1, 0 :: v_dual_lshlrev_b32 v2, 2, v0
	s_lshl_b64 s[4:5], s[0:1], 2
	s_mov_b32 s13, s1
	s_delay_alu instid0(VALU_DEP_1) | instskip(SKIP_4) | instid1(SALU_CYCLE_1)
	v_mov_b32_e32 v3, v1
	s_waitcnt lgkmcnt(0)
	s_add_u32 s4, s10, s4
	s_addc_u32 s5, s11, s5
	s_ashr_i32 s3, s2, 31
	s_lshl_b64 s[6:7], s[2:3], 2
	s_delay_alu instid0(SALU_CYCLE_1)
	s_add_u32 s6, s4, s6
	s_addc_u32 s7, s5, s7
	s_lshl_b64 s[10:11], s[12:13], 2
	s_mov_b32 s13, 0xba1345e1
	s_add_u32 s8, s8, s10
	s_addc_u32 s9, s9, s11
	s_and_b32 s10, s14, 0xffff
	s_mov_b32 s11, 0x378e98ab
	s_lshl_b32 s12, s10, 2
	s_branch .LBB35_3
.LBB35_2:                               ;   in Loop: Header=BB35_3 Depth=1
	s_or_b32 exec_lo, exec_lo, s0
	s_delay_alu instid0(VALU_DEP_1) | instskip(SKIP_3) | instid1(VALU_DEP_4)
	v_bfi_b32 v6, 0x7fffffff, v7, v6
	v_mul_f32_e32 v5, 0.5, v5
	v_add_co_u32 v0, vcc_lo, v0, s10
	v_add_co_ci_u32_e32 v1, vcc_lo, 0, v1, vcc_lo
	v_add_f32_e32 v6, 1.0, v6
	s_delay_alu instid0(VALU_DEP_1)
	v_mul_f32_e32 v7, v5, v6
	v_add_co_u32 v5, vcc_lo, s8, v2
	v_add_co_ci_u32_e32 v6, vcc_lo, s9, v3, vcc_lo
	v_cmp_le_i64_e32 vcc_lo, s[2:3], v[0:1]
	v_add_co_u32 v2, s0, v2, s12
	s_waitcnt vmcnt(0)
	v_mul_f32_e32 v4, v4, v7
	v_add_co_ci_u32_e64 v3, s0, 0, v3, s0
	s_or_b32 s1, vcc_lo, s1
	global_store_b32 v[5:6], v4, off
	s_and_not1_b32 exec_lo, exec_lo, s1
	s_cbranch_execz .LBB35_7
.LBB35_3:                               ; =>This Inner Loop Header: Depth=1
	v_add_co_u32 v4, vcc_lo, s4, v2
	v_add_co_ci_u32_e32 v5, vcc_lo, s5, v3, vcc_lo
	v_add_co_u32 v6, vcc_lo, s6, v2
	v_add_co_ci_u32_e32 v7, vcc_lo, s7, v3, vcc_lo
	s_clause 0x1
	global_load_b32 v5, v[4:5], off
	global_load_b32 v4, v[6:7], off
                                        ; implicit-def: $vgpr7
	s_waitcnt vmcnt(1)
	v_mul_f32_e32 v6, 0x3f3504f3, v5
	s_delay_alu instid0(VALU_DEP_1) | instskip(NEXT) | instid1(VALU_DEP_1)
	v_cmp_nlt_f32_e64 s0, |v6|, 1.0
	s_and_saveexec_b32 s14, s0
	s_delay_alu instid0(SALU_CYCLE_1)
	s_xor_b32 s0, exec_lo, s14
	s_cbranch_execz .LBB35_5
; %bb.4:                                ;   in Loop: Header=BB35_3 Depth=1
	v_fma_f32 v7, |v6|, s11, 0xb9c68948
	s_delay_alu instid0(VALU_DEP_1) | instskip(NEXT) | instid1(VALU_DEP_1)
	v_fma_f32 v7, |v6|, v7, 0x3b7cd369
	v_fma_f32 v7, |v6|, v7, 0xbcc618b2
	s_delay_alu instid0(VALU_DEP_1) | instskip(NEXT) | instid1(VALU_DEP_1)
	v_fma_f32 v7, |v6|, v7, 0x3dda74e4
	;; [unrolled: 3-line block ×3, first 2 shown]
	v_fma_f32 v7, |v6|, v7, |v6|
	s_delay_alu instid0(VALU_DEP_1) | instskip(SKIP_1) | instid1(VALU_DEP_2)
	v_mul_f32_e32 v8, 0xbfb8aa3b, v7
	v_cmp_nlt_f32_e32 vcc_lo, 0x42ce8ed0, v7
	v_fma_f32 v9, 0xbfb8aa3b, v7, -v8
	v_rndne_f32_e32 v10, v8
	s_delay_alu instid0(VALU_DEP_1) | instskip(NEXT) | instid1(VALU_DEP_1)
	v_dual_fmac_f32 v9, 0xb2a5705f, v7 :: v_dual_sub_f32 v8, v8, v10
	v_add_f32_e32 v8, v8, v9
	v_cvt_i32_f32_e32 v9, v10
	s_delay_alu instid0(VALU_DEP_2) | instskip(SKIP_2) | instid1(VALU_DEP_1)
	v_exp_f32_e32 v8, v8
	s_waitcnt_depctr 0xfff
	v_ldexp_f32 v8, v8, v9
	v_cndmask_b32_e32 v8, 0, v8, vcc_lo
	v_cmp_ngt_f32_e32 vcc_lo, 0xc2b17218, v7
	s_delay_alu instid0(VALU_DEP_2) | instskip(NEXT) | instid1(VALU_DEP_1)
	v_cndmask_b32_e32 v7, 0x7f800000, v8, vcc_lo
	v_sub_f32_e32 v7, 1.0, v7
.LBB35_5:                               ;   in Loop: Header=BB35_3 Depth=1
	s_and_not1_saveexec_b32 s0, s0
	s_cbranch_execz .LBB35_2
; %bb.6:                                ;   in Loop: Header=BB35_3 Depth=1
	v_mul_f32_e32 v7, v6, v6
	s_delay_alu instid0(VALU_DEP_1) | instskip(NEXT) | instid1(VALU_DEP_1)
	v_fmaak_f32 v8, s13, v7, 0x3ba10414
	v_fmaak_f32 v8, v7, v8, 0xbcdac9b8
	s_delay_alu instid0(VALU_DEP_1) | instskip(NEXT) | instid1(VALU_DEP_1)
	v_fmaak_f32 v8, v7, v8, 0x3de703be
	v_fmaak_f32 v8, v7, v8, 0xbec09330
	s_delay_alu instid0(VALU_DEP_1) | instskip(NEXT) | instid1(VALU_DEP_1)
	v_fmaak_f32 v7, v7, v8, 0x3e0375d0
	v_fma_f32 v7, |v6|, v7, |v6|
	s_branch .LBB35_2
.LBB35_7:
	s_nop 0
	s_sendmsg sendmsg(MSG_DEALLOC_VGPRS)
	s_endpgm
	.section	.rodata,"a",@progbits
	.p2align	6, 0x0
	.amdhsa_kernel _ZN4vllm18act_and_mul_kernelIf15HIP_vector_typeIfLj2EETnPFT_RKS3_EXadL_ZNS_11gelu_kernelIfEES3_S5_EETnPFT0_RKS9_EXadL_ZNS_18packed_gelu_kernelIS2_EES3_S5_EELb1ELb0ELb0ELb0EEEvPS3_PS4_if
		.amdhsa_group_segment_fixed_size 0
		.amdhsa_private_segment_fixed_size 0
		.amdhsa_kernarg_size 280
		.amdhsa_user_sgpr_count 15
		.amdhsa_user_sgpr_dispatch_ptr 0
		.amdhsa_user_sgpr_queue_ptr 0
		.amdhsa_user_sgpr_kernarg_segment_ptr 1
		.amdhsa_user_sgpr_dispatch_id 0
		.amdhsa_user_sgpr_private_segment_size 0
		.amdhsa_wavefront_size32 1
		.amdhsa_uses_dynamic_stack 0
		.amdhsa_enable_private_segment 0
		.amdhsa_system_sgpr_workgroup_id_x 1
		.amdhsa_system_sgpr_workgroup_id_y 0
		.amdhsa_system_sgpr_workgroup_id_z 0
		.amdhsa_system_sgpr_workgroup_info 0
		.amdhsa_system_vgpr_workitem_id 0
		.amdhsa_next_free_vgpr 11
		.amdhsa_next_free_sgpr 16
		.amdhsa_reserve_vcc 1
		.amdhsa_float_round_mode_32 0
		.amdhsa_float_round_mode_16_64 0
		.amdhsa_float_denorm_mode_32 3
		.amdhsa_float_denorm_mode_16_64 3
		.amdhsa_dx10_clamp 1
		.amdhsa_ieee_mode 1
		.amdhsa_fp16_overflow 0
		.amdhsa_workgroup_processor_mode 1
		.amdhsa_memory_ordered 1
		.amdhsa_forward_progress 0
		.amdhsa_shared_vgpr_count 0
		.amdhsa_exception_fp_ieee_invalid_op 0
		.amdhsa_exception_fp_denorm_src 0
		.amdhsa_exception_fp_ieee_div_zero 0
		.amdhsa_exception_fp_ieee_overflow 0
		.amdhsa_exception_fp_ieee_underflow 0
		.amdhsa_exception_fp_ieee_inexact 0
		.amdhsa_exception_int_div_zero 0
	.end_amdhsa_kernel
	.section	.text._ZN4vllm18act_and_mul_kernelIf15HIP_vector_typeIfLj2EETnPFT_RKS3_EXadL_ZNS_11gelu_kernelIfEES3_S5_EETnPFT0_RKS9_EXadL_ZNS_18packed_gelu_kernelIS2_EES3_S5_EELb1ELb0ELb0ELb0EEEvPS3_PS4_if,"axG",@progbits,_ZN4vllm18act_and_mul_kernelIf15HIP_vector_typeIfLj2EETnPFT_RKS3_EXadL_ZNS_11gelu_kernelIfEES3_S5_EETnPFT0_RKS9_EXadL_ZNS_18packed_gelu_kernelIS2_EES3_S5_EELb1ELb0ELb0ELb0EEEvPS3_PS4_if,comdat
.Lfunc_end35:
	.size	_ZN4vllm18act_and_mul_kernelIf15HIP_vector_typeIfLj2EETnPFT_RKS3_EXadL_ZNS_11gelu_kernelIfEES3_S5_EETnPFT0_RKS9_EXadL_ZNS_18packed_gelu_kernelIS2_EES3_S5_EELb1ELb0ELb0ELb0EEEvPS3_PS4_if, .Lfunc_end35-_ZN4vllm18act_and_mul_kernelIf15HIP_vector_typeIfLj2EETnPFT_RKS3_EXadL_ZNS_11gelu_kernelIfEES3_S5_EETnPFT0_RKS9_EXadL_ZNS_18packed_gelu_kernelIS2_EES3_S5_EELb1ELb0ELb0ELb0EEEvPS3_PS4_if
                                        ; -- End function
	.section	.AMDGPU.csdata,"",@progbits
; Kernel info:
; codeLenInByte = 640
; NumSgprs: 18
; NumVgprs: 11
; ScratchSize: 0
; MemoryBound: 0
; FloatMode: 240
; IeeeMode: 1
; LDSByteSize: 0 bytes/workgroup (compile time only)
; SGPRBlocks: 2
; VGPRBlocks: 1
; NumSGPRsForWavesPerEU: 18
; NumVGPRsForWavesPerEU: 11
; Occupancy: 16
; WaveLimiterHint : 0
; COMPUTE_PGM_RSRC2:SCRATCH_EN: 0
; COMPUTE_PGM_RSRC2:USER_SGPR: 15
; COMPUTE_PGM_RSRC2:TRAP_HANDLER: 0
; COMPUTE_PGM_RSRC2:TGID_X_EN: 1
; COMPUTE_PGM_RSRC2:TGID_Y_EN: 0
; COMPUTE_PGM_RSRC2:TGID_Z_EN: 0
; COMPUTE_PGM_RSRC2:TIDIG_COMP_CNT: 0
	.section	.text._ZN4vllm18act_and_mul_kernelIN3c104HalfE7__half2TnPFT_RKS4_EXadL_ZNS_11gelu_kernelIS2_EES4_S6_EETnPFT0_RKSA_EXadL_ZNS_18packed_gelu_kernelIS3_EES4_S6_EELb1ELb0ELb0ELb0EEEvPS4_PS5_if,"axG",@progbits,_ZN4vllm18act_and_mul_kernelIN3c104HalfE7__half2TnPFT_RKS4_EXadL_ZNS_11gelu_kernelIS2_EES4_S6_EETnPFT0_RKSA_EXadL_ZNS_18packed_gelu_kernelIS3_EES4_S6_EELb1ELb0ELb0ELb0EEEvPS4_PS5_if,comdat
	.protected	_ZN4vllm18act_and_mul_kernelIN3c104HalfE7__half2TnPFT_RKS4_EXadL_ZNS_11gelu_kernelIS2_EES4_S6_EETnPFT0_RKSA_EXadL_ZNS_18packed_gelu_kernelIS3_EES4_S6_EELb1ELb0ELb0ELb0EEEvPS4_PS5_if ; -- Begin function _ZN4vllm18act_and_mul_kernelIN3c104HalfE7__half2TnPFT_RKS4_EXadL_ZNS_11gelu_kernelIS2_EES4_S6_EETnPFT0_RKSA_EXadL_ZNS_18packed_gelu_kernelIS3_EES4_S6_EELb1ELb0ELb0ELb0EEEvPS4_PS5_if
	.globl	_ZN4vllm18act_and_mul_kernelIN3c104HalfE7__half2TnPFT_RKS4_EXadL_ZNS_11gelu_kernelIS2_EES4_S6_EETnPFT0_RKSA_EXadL_ZNS_18packed_gelu_kernelIS3_EES4_S6_EELb1ELb0ELb0ELb0EEEvPS4_PS5_if
	.p2align	8
	.type	_ZN4vllm18act_and_mul_kernelIN3c104HalfE7__half2TnPFT_RKS4_EXadL_ZNS_11gelu_kernelIS2_EES4_S6_EETnPFT0_RKSA_EXadL_ZNS_18packed_gelu_kernelIS3_EES4_S6_EELb1ELb0ELb0ELb0EEEvPS4_PS5_if,@function
_ZN4vllm18act_and_mul_kernelIN3c104HalfE7__half2TnPFT_RKS4_EXadL_ZNS_11gelu_kernelIS2_EES4_S6_EETnPFT0_RKSA_EXadL_ZNS_18packed_gelu_kernelIS3_EES4_S6_EELb1ELb0ELb0ELb0EEEvPS4_PS5_if: ; @_ZN4vllm18act_and_mul_kernelIN3c104HalfE7__half2TnPFT_RKS4_EXadL_ZNS_11gelu_kernelIS2_EES4_S6_EETnPFT0_RKSA_EXadL_ZNS_18packed_gelu_kernelIS3_EES4_S6_EELb1ELb0ELb0ELb0EEEvPS4_PS5_if
; %bb.0:
	s_load_b32 s2, s[0:1], 0x10
	s_mov_b32 s3, exec_lo
	s_waitcnt lgkmcnt(0)
	v_cmpx_gt_i32_e64 s2, v0
	s_cbranch_execz .LBB36_7
; %bb.1:
	s_clause 0x1
	s_load_b128 s[8:11], s[0:1], 0x0
	s_load_b32 s14, s[0:1], 0x24
	s_mul_i32 s12, s15, s2
	s_mov_b32 s1, 0
	s_lshl_b32 s0, s12, 1
	v_dual_mov_b32 v1, 0 :: v_dual_lshlrev_b32 v2, 1, v0
	s_lshl_b64 s[4:5], s[0:1], 1
	s_mov_b32 s13, s1
	s_delay_alu instid0(VALU_DEP_1) | instskip(SKIP_4) | instid1(SALU_CYCLE_1)
	v_mov_b32_e32 v3, v1
	s_waitcnt lgkmcnt(0)
	s_add_u32 s4, s10, s4
	s_addc_u32 s5, s11, s5
	s_ashr_i32 s3, s2, 31
	s_lshl_b64 s[6:7], s[2:3], 1
	s_delay_alu instid0(SALU_CYCLE_1)
	s_add_u32 s6, s4, s6
	s_addc_u32 s7, s5, s7
	s_lshl_b64 s[10:11], s[12:13], 1
	s_mov_b32 s13, 0xba1345e1
	s_add_u32 s8, s8, s10
	s_addc_u32 s9, s9, s11
	s_and_b32 s10, s14, 0xffff
	s_mov_b32 s11, 0x378e98ab
	s_lshl_b32 s12, s10, 1
	s_branch .LBB36_3
.LBB36_2:                               ;   in Loop: Header=BB36_3 Depth=1
	s_or_b32 exec_lo, exec_lo, s0
	s_delay_alu instid0(VALU_DEP_1) | instskip(SKIP_3) | instid1(VALU_DEP_4)
	v_bfi_b32 v6, 0x7fffffff, v7, v6
	v_mul_f32_e32 v5, 0.5, v5
	v_add_co_u32 v0, vcc_lo, v0, s10
	v_add_co_ci_u32_e32 v1, vcc_lo, 0, v1, vcc_lo
	v_add_f32_e32 v6, 1.0, v6
	s_delay_alu instid0(VALU_DEP_1)
	v_fma_mixlo_f16 v7, v5, v6, 0
	v_add_co_u32 v5, vcc_lo, s8, v2
	v_add_co_ci_u32_e32 v6, vcc_lo, s9, v3, vcc_lo
	v_cmp_le_i64_e32 vcc_lo, s[2:3], v[0:1]
	v_add_co_u32 v2, s0, v2, s12
	s_waitcnt vmcnt(0)
	v_mul_f16_e32 v4, v4, v7
	v_add_co_ci_u32_e64 v3, s0, 0, v3, s0
	s_or_b32 s1, vcc_lo, s1
	global_store_b16 v[5:6], v4, off
	s_and_not1_b32 exec_lo, exec_lo, s1
	s_cbranch_execz .LBB36_7
.LBB36_3:                               ; =>This Inner Loop Header: Depth=1
	v_add_co_u32 v4, vcc_lo, s4, v2
	v_add_co_ci_u32_e32 v5, vcc_lo, s5, v3, vcc_lo
                                        ; implicit-def: $vgpr7
	global_load_u16 v6, v[4:5], off
	v_add_co_u32 v4, vcc_lo, s6, v2
	v_add_co_ci_u32_e32 v5, vcc_lo, s7, v3, vcc_lo
	global_load_u16 v4, v[4:5], off
	s_waitcnt vmcnt(1)
	v_cvt_f32_f16_e32 v5, v6
	s_delay_alu instid0(VALU_DEP_1) | instskip(NEXT) | instid1(VALU_DEP_1)
	v_mul_f32_e32 v6, 0x3f3504f3, v5
	v_cmp_nlt_f32_e64 s0, |v6|, 1.0
	s_delay_alu instid0(VALU_DEP_1) | instskip(NEXT) | instid1(SALU_CYCLE_1)
	s_and_saveexec_b32 s14, s0
	s_xor_b32 s0, exec_lo, s14
	s_cbranch_execz .LBB36_5
; %bb.4:                                ;   in Loop: Header=BB36_3 Depth=1
	v_fma_f32 v7, |v6|, s11, 0xb9c68948
	s_delay_alu instid0(VALU_DEP_1) | instskip(NEXT) | instid1(VALU_DEP_1)
	v_fma_f32 v7, |v6|, v7, 0x3b7cd369
	v_fma_f32 v7, |v6|, v7, 0xbcc618b2
	s_delay_alu instid0(VALU_DEP_1) | instskip(NEXT) | instid1(VALU_DEP_1)
	v_fma_f32 v7, |v6|, v7, 0x3dda74e4
	;; [unrolled: 3-line block ×3, first 2 shown]
	v_fma_f32 v7, |v6|, v7, |v6|
	s_delay_alu instid0(VALU_DEP_1) | instskip(SKIP_1) | instid1(VALU_DEP_2)
	v_mul_f32_e32 v8, 0xbfb8aa3b, v7
	v_cmp_nlt_f32_e32 vcc_lo, 0x42ce8ed0, v7
	v_fma_f32 v9, 0xbfb8aa3b, v7, -v8
	v_rndne_f32_e32 v10, v8
	s_delay_alu instid0(VALU_DEP_1) | instskip(NEXT) | instid1(VALU_DEP_1)
	v_dual_fmac_f32 v9, 0xb2a5705f, v7 :: v_dual_sub_f32 v8, v8, v10
	v_add_f32_e32 v8, v8, v9
	v_cvt_i32_f32_e32 v9, v10
	s_delay_alu instid0(VALU_DEP_2) | instskip(SKIP_2) | instid1(VALU_DEP_1)
	v_exp_f32_e32 v8, v8
	s_waitcnt_depctr 0xfff
	v_ldexp_f32 v8, v8, v9
	v_cndmask_b32_e32 v8, 0, v8, vcc_lo
	v_cmp_ngt_f32_e32 vcc_lo, 0xc2b17218, v7
	s_delay_alu instid0(VALU_DEP_2) | instskip(NEXT) | instid1(VALU_DEP_1)
	v_cndmask_b32_e32 v7, 0x7f800000, v8, vcc_lo
	v_sub_f32_e32 v7, 1.0, v7
.LBB36_5:                               ;   in Loop: Header=BB36_3 Depth=1
	s_and_not1_saveexec_b32 s0, s0
	s_cbranch_execz .LBB36_2
; %bb.6:                                ;   in Loop: Header=BB36_3 Depth=1
	v_mul_f32_e32 v7, v6, v6
	s_delay_alu instid0(VALU_DEP_1) | instskip(NEXT) | instid1(VALU_DEP_1)
	v_fmaak_f32 v8, s13, v7, 0x3ba10414
	v_fmaak_f32 v8, v7, v8, 0xbcdac9b8
	s_delay_alu instid0(VALU_DEP_1) | instskip(NEXT) | instid1(VALU_DEP_1)
	v_fmaak_f32 v8, v7, v8, 0x3de703be
	v_fmaak_f32 v8, v7, v8, 0xbec09330
	s_delay_alu instid0(VALU_DEP_1) | instskip(NEXT) | instid1(VALU_DEP_1)
	v_fmaak_f32 v7, v7, v8, 0x3e0375d0
	v_fma_f32 v7, |v6|, v7, |v6|
	s_branch .LBB36_2
.LBB36_7:
	s_nop 0
	s_sendmsg sendmsg(MSG_DEALLOC_VGPRS)
	s_endpgm
	.section	.rodata,"a",@progbits
	.p2align	6, 0x0
	.amdhsa_kernel _ZN4vllm18act_and_mul_kernelIN3c104HalfE7__half2TnPFT_RKS4_EXadL_ZNS_11gelu_kernelIS2_EES4_S6_EETnPFT0_RKSA_EXadL_ZNS_18packed_gelu_kernelIS3_EES4_S6_EELb1ELb0ELb0ELb0EEEvPS4_PS5_if
		.amdhsa_group_segment_fixed_size 0
		.amdhsa_private_segment_fixed_size 0
		.amdhsa_kernarg_size 280
		.amdhsa_user_sgpr_count 15
		.amdhsa_user_sgpr_dispatch_ptr 0
		.amdhsa_user_sgpr_queue_ptr 0
		.amdhsa_user_sgpr_kernarg_segment_ptr 1
		.amdhsa_user_sgpr_dispatch_id 0
		.amdhsa_user_sgpr_private_segment_size 0
		.amdhsa_wavefront_size32 1
		.amdhsa_uses_dynamic_stack 0
		.amdhsa_enable_private_segment 0
		.amdhsa_system_sgpr_workgroup_id_x 1
		.amdhsa_system_sgpr_workgroup_id_y 0
		.amdhsa_system_sgpr_workgroup_id_z 0
		.amdhsa_system_sgpr_workgroup_info 0
		.amdhsa_system_vgpr_workitem_id 0
		.amdhsa_next_free_vgpr 11
		.amdhsa_next_free_sgpr 16
		.amdhsa_reserve_vcc 1
		.amdhsa_float_round_mode_32 0
		.amdhsa_float_round_mode_16_64 0
		.amdhsa_float_denorm_mode_32 3
		.amdhsa_float_denorm_mode_16_64 3
		.amdhsa_dx10_clamp 1
		.amdhsa_ieee_mode 1
		.amdhsa_fp16_overflow 0
		.amdhsa_workgroup_processor_mode 1
		.amdhsa_memory_ordered 1
		.amdhsa_forward_progress 0
		.amdhsa_shared_vgpr_count 0
		.amdhsa_exception_fp_ieee_invalid_op 0
		.amdhsa_exception_fp_denorm_src 0
		.amdhsa_exception_fp_ieee_div_zero 0
		.amdhsa_exception_fp_ieee_overflow 0
		.amdhsa_exception_fp_ieee_underflow 0
		.amdhsa_exception_fp_ieee_inexact 0
		.amdhsa_exception_int_div_zero 0
	.end_amdhsa_kernel
	.section	.text._ZN4vllm18act_and_mul_kernelIN3c104HalfE7__half2TnPFT_RKS4_EXadL_ZNS_11gelu_kernelIS2_EES4_S6_EETnPFT0_RKSA_EXadL_ZNS_18packed_gelu_kernelIS3_EES4_S6_EELb1ELb0ELb0ELb0EEEvPS4_PS5_if,"axG",@progbits,_ZN4vllm18act_and_mul_kernelIN3c104HalfE7__half2TnPFT_RKS4_EXadL_ZNS_11gelu_kernelIS2_EES4_S6_EETnPFT0_RKSA_EXadL_ZNS_18packed_gelu_kernelIS3_EES4_S6_EELb1ELb0ELb0ELb0EEEvPS4_PS5_if,comdat
.Lfunc_end36:
	.size	_ZN4vllm18act_and_mul_kernelIN3c104HalfE7__half2TnPFT_RKS4_EXadL_ZNS_11gelu_kernelIS2_EES4_S6_EETnPFT0_RKSA_EXadL_ZNS_18packed_gelu_kernelIS3_EES4_S6_EELb1ELb0ELb0ELb0EEEvPS4_PS5_if, .Lfunc_end36-_ZN4vllm18act_and_mul_kernelIN3c104HalfE7__half2TnPFT_RKS4_EXadL_ZNS_11gelu_kernelIS2_EES4_S6_EETnPFT0_RKSA_EXadL_ZNS_18packed_gelu_kernelIS3_EES4_S6_EELb1ELb0ELb0ELb0EEEvPS4_PS5_if
                                        ; -- End function
	.section	.AMDGPU.csdata,"",@progbits
; Kernel info:
; codeLenInByte = 644
; NumSgprs: 18
; NumVgprs: 11
; ScratchSize: 0
; MemoryBound: 0
; FloatMode: 240
; IeeeMode: 1
; LDSByteSize: 0 bytes/workgroup (compile time only)
; SGPRBlocks: 2
; VGPRBlocks: 1
; NumSGPRsForWavesPerEU: 18
; NumVGPRsForWavesPerEU: 11
; Occupancy: 16
; WaveLimiterHint : 0
; COMPUTE_PGM_RSRC2:SCRATCH_EN: 0
; COMPUTE_PGM_RSRC2:USER_SGPR: 15
; COMPUTE_PGM_RSRC2:TRAP_HANDLER: 0
; COMPUTE_PGM_RSRC2:TGID_X_EN: 1
; COMPUTE_PGM_RSRC2:TGID_Y_EN: 0
; COMPUTE_PGM_RSRC2:TGID_Z_EN: 0
; COMPUTE_PGM_RSRC2:TIDIG_COMP_CNT: 0
	.section	.text._ZN4vllm18act_and_mul_kernelIN3c108BFloat16E15__hip_bfloat162TnPFT_RKS4_EXadL_ZNS_11gelu_kernelIS2_EES4_S6_EETnPFT0_RKSA_EXadL_ZNS_18packed_gelu_kernelIS3_EES4_S6_EELb1ELb0ELb0ELb0EEEvPS4_PS5_if,"axG",@progbits,_ZN4vllm18act_and_mul_kernelIN3c108BFloat16E15__hip_bfloat162TnPFT_RKS4_EXadL_ZNS_11gelu_kernelIS2_EES4_S6_EETnPFT0_RKSA_EXadL_ZNS_18packed_gelu_kernelIS3_EES4_S6_EELb1ELb0ELb0ELb0EEEvPS4_PS5_if,comdat
	.protected	_ZN4vllm18act_and_mul_kernelIN3c108BFloat16E15__hip_bfloat162TnPFT_RKS4_EXadL_ZNS_11gelu_kernelIS2_EES4_S6_EETnPFT0_RKSA_EXadL_ZNS_18packed_gelu_kernelIS3_EES4_S6_EELb1ELb0ELb0ELb0EEEvPS4_PS5_if ; -- Begin function _ZN4vllm18act_and_mul_kernelIN3c108BFloat16E15__hip_bfloat162TnPFT_RKS4_EXadL_ZNS_11gelu_kernelIS2_EES4_S6_EETnPFT0_RKSA_EXadL_ZNS_18packed_gelu_kernelIS3_EES4_S6_EELb1ELb0ELb0ELb0EEEvPS4_PS5_if
	.globl	_ZN4vllm18act_and_mul_kernelIN3c108BFloat16E15__hip_bfloat162TnPFT_RKS4_EXadL_ZNS_11gelu_kernelIS2_EES4_S6_EETnPFT0_RKSA_EXadL_ZNS_18packed_gelu_kernelIS3_EES4_S6_EELb1ELb0ELb0ELb0EEEvPS4_PS5_if
	.p2align	8
	.type	_ZN4vllm18act_and_mul_kernelIN3c108BFloat16E15__hip_bfloat162TnPFT_RKS4_EXadL_ZNS_11gelu_kernelIS2_EES4_S6_EETnPFT0_RKSA_EXadL_ZNS_18packed_gelu_kernelIS3_EES4_S6_EELb1ELb0ELb0ELb0EEEvPS4_PS5_if,@function
_ZN4vllm18act_and_mul_kernelIN3c108BFloat16E15__hip_bfloat162TnPFT_RKS4_EXadL_ZNS_11gelu_kernelIS2_EES4_S6_EETnPFT0_RKSA_EXadL_ZNS_18packed_gelu_kernelIS3_EES4_S6_EELb1ELb0ELb0ELb0EEEvPS4_PS5_if: ; @_ZN4vllm18act_and_mul_kernelIN3c108BFloat16E15__hip_bfloat162TnPFT_RKS4_EXadL_ZNS_11gelu_kernelIS2_EES4_S6_EETnPFT0_RKSA_EXadL_ZNS_18packed_gelu_kernelIS3_EES4_S6_EELb1ELb0ELb0ELb0EEEvPS4_PS5_if
; %bb.0:
	s_load_b32 s8, s[0:1], 0x10
	s_mov_b32 s2, exec_lo
	s_waitcnt lgkmcnt(0)
	v_cmpx_gt_i32_e64 s8, v0
	s_cbranch_execz .LBB37_16
; %bb.1:
	s_load_b32 s2, s[0:1], 0x24
	s_ashr_i32 s9, s8, 31
	s_waitcnt lgkmcnt(0)
	s_and_b32 s14, s2, 0xffff
	s_delay_alu instid0(SALU_CYCLE_1) | instskip(NEXT) | instid1(VALU_DEP_1)
	v_add_co_u32 v1, s2, v0, s14
	v_add_co_ci_u32_e64 v2, null, 0, 0, s2
	s_delay_alu instid0(VALU_DEP_1) | instskip(SKIP_1) | instid1(VALU_DEP_2)
	v_cmp_gt_i64_e64 s2, s[8:9], v[1:2]
	v_cmp_lt_i64_e32 vcc_lo, s[8:9], v[1:2]
	v_cndmask_b32_e64 v6, 0, 1, s2
	v_cndmask_b32_e32 v3, s9, v2, vcc_lo
	v_cndmask_b32_e32 v4, s8, v1, vcc_lo
	s_mov_b32 s2, exec_lo
	s_delay_alu instid0(VALU_DEP_3) | instskip(SKIP_2) | instid1(VALU_DEP_3)
	v_add_co_u32 v5, vcc_lo, v1, v6
	v_mov_b32_e32 v1, 0
	v_add_co_ci_u32_e32 v2, vcc_lo, 0, v2, vcc_lo
	v_sub_co_u32 v7, vcc_lo, v4, v5
                                        ; implicit-def: $vgpr4_vgpr5
	s_delay_alu instid0(VALU_DEP_2) | instskip(NEXT) | instid1(VALU_DEP_4)
	v_sub_co_ci_u32_e32 v3, vcc_lo, v3, v2, vcc_lo
	v_mov_b32_e32 v2, v1
	s_delay_alu instid0(VALU_DEP_1)
	v_cmpx_ne_u64_e32 0, v[2:3]
	s_xor_b32 s3, exec_lo, s2
	s_cbranch_execz .LBB37_3
; %bb.2:
	v_cvt_f32_u32_e32 v2, s14
	s_sub_u32 s2, 0, s14
	s_subb_u32 s4, 0, 0
	s_delay_alu instid0(VALU_DEP_1) | instskip(NEXT) | instid1(VALU_DEP_1)
	v_fmamk_f32 v2, 0, 0x4f800000, v2
	v_rcp_f32_e32 v2, v2
	s_waitcnt_depctr 0xfff
	v_mul_f32_e32 v2, 0x5f7ffffc, v2
	s_delay_alu instid0(VALU_DEP_1) | instskip(NEXT) | instid1(VALU_DEP_1)
	v_mul_f32_e32 v4, 0x2f800000, v2
	v_trunc_f32_e32 v4, v4
	s_delay_alu instid0(VALU_DEP_1) | instskip(SKIP_1) | instid1(VALU_DEP_2)
	v_fmamk_f32 v2, v4, 0xcf800000, v2
	v_cvt_u32_f32_e32 v4, v4
	v_cvt_u32_f32_e32 v2, v2
	s_delay_alu instid0(VALU_DEP_2) | instskip(NEXT) | instid1(VALU_DEP_2)
	v_mul_lo_u32 v5, s2, v4
	v_mul_hi_u32 v8, s2, v2
	v_mul_lo_u32 v9, s4, v2
	s_delay_alu instid0(VALU_DEP_2) | instskip(SKIP_1) | instid1(VALU_DEP_2)
	v_add_nc_u32_e32 v5, v8, v5
	v_mul_lo_u32 v8, s2, v2
	v_add_nc_u32_e32 v5, v5, v9
	s_delay_alu instid0(VALU_DEP_2) | instskip(NEXT) | instid1(VALU_DEP_2)
	v_mul_hi_u32 v9, v2, v8
	v_mul_lo_u32 v10, v2, v5
	v_mul_hi_u32 v11, v2, v5
	v_mul_hi_u32 v12, v4, v8
	v_mul_lo_u32 v8, v4, v8
	v_mul_hi_u32 v13, v4, v5
	v_mul_lo_u32 v5, v4, v5
	v_add_co_u32 v9, vcc_lo, v9, v10
	v_add_co_ci_u32_e32 v10, vcc_lo, 0, v11, vcc_lo
	s_delay_alu instid0(VALU_DEP_2) | instskip(NEXT) | instid1(VALU_DEP_2)
	v_add_co_u32 v8, vcc_lo, v9, v8
	v_add_co_ci_u32_e32 v8, vcc_lo, v10, v12, vcc_lo
	v_add_co_ci_u32_e32 v9, vcc_lo, 0, v13, vcc_lo
	s_delay_alu instid0(VALU_DEP_2) | instskip(NEXT) | instid1(VALU_DEP_2)
	v_add_co_u32 v5, vcc_lo, v8, v5
	v_add_co_ci_u32_e32 v8, vcc_lo, 0, v9, vcc_lo
	s_delay_alu instid0(VALU_DEP_2) | instskip(NEXT) | instid1(VALU_DEP_2)
	v_add_co_u32 v2, vcc_lo, v2, v5
	v_add_co_ci_u32_e32 v4, vcc_lo, v4, v8, vcc_lo
	s_delay_alu instid0(VALU_DEP_2) | instskip(SKIP_1) | instid1(VALU_DEP_3)
	v_mul_hi_u32 v5, s2, v2
	v_mul_lo_u32 v9, s4, v2
	v_mul_lo_u32 v8, s2, v4
	s_delay_alu instid0(VALU_DEP_1) | instskip(SKIP_1) | instid1(VALU_DEP_2)
	v_add_nc_u32_e32 v5, v5, v8
	v_mul_lo_u32 v8, s2, v2
	v_add_nc_u32_e32 v5, v5, v9
	s_delay_alu instid0(VALU_DEP_2) | instskip(NEXT) | instid1(VALU_DEP_2)
	v_mul_hi_u32 v9, v2, v8
	v_mul_lo_u32 v10, v2, v5
	v_mul_hi_u32 v11, v2, v5
	v_mul_hi_u32 v12, v4, v8
	v_mul_lo_u32 v8, v4, v8
	v_mul_hi_u32 v13, v4, v5
	v_mul_lo_u32 v5, v4, v5
	v_add_co_u32 v9, vcc_lo, v9, v10
	v_add_co_ci_u32_e32 v10, vcc_lo, 0, v11, vcc_lo
	s_delay_alu instid0(VALU_DEP_2) | instskip(NEXT) | instid1(VALU_DEP_2)
	v_add_co_u32 v8, vcc_lo, v9, v8
	v_add_co_ci_u32_e32 v8, vcc_lo, v10, v12, vcc_lo
	v_add_co_ci_u32_e32 v9, vcc_lo, 0, v13, vcc_lo
	s_delay_alu instid0(VALU_DEP_2) | instskip(NEXT) | instid1(VALU_DEP_2)
	v_add_co_u32 v5, vcc_lo, v8, v5
	v_add_co_ci_u32_e32 v8, vcc_lo, 0, v9, vcc_lo
	s_delay_alu instid0(VALU_DEP_2) | instskip(NEXT) | instid1(VALU_DEP_2)
	v_add_co_u32 v2, vcc_lo, v2, v5
	v_add_co_ci_u32_e32 v12, vcc_lo, v4, v8, vcc_lo
	s_delay_alu instid0(VALU_DEP_2) | instskip(SKIP_1) | instid1(VALU_DEP_3)
	v_mul_hi_u32 v13, v7, v2
	v_mad_u64_u32 v[8:9], null, v3, v2, 0
	v_mad_u64_u32 v[4:5], null, v7, v12, 0
	;; [unrolled: 1-line block ×3, first 2 shown]
	s_delay_alu instid0(VALU_DEP_2) | instskip(NEXT) | instid1(VALU_DEP_3)
	v_add_co_u32 v2, vcc_lo, v13, v4
	v_add_co_ci_u32_e32 v4, vcc_lo, 0, v5, vcc_lo
	s_delay_alu instid0(VALU_DEP_2) | instskip(NEXT) | instid1(VALU_DEP_2)
	v_add_co_u32 v2, vcc_lo, v2, v8
	v_add_co_ci_u32_e32 v2, vcc_lo, v4, v9, vcc_lo
	v_add_co_ci_u32_e32 v4, vcc_lo, 0, v11, vcc_lo
	s_delay_alu instid0(VALU_DEP_2) | instskip(NEXT) | instid1(VALU_DEP_2)
	v_add_co_u32 v10, vcc_lo, v2, v10
	v_add_co_ci_u32_e32 v11, vcc_lo, 0, v4, vcc_lo
	s_delay_alu instid0(VALU_DEP_2) | instskip(NEXT) | instid1(VALU_DEP_1)
	v_mad_u64_u32 v[4:5], null, s14, v10, 0
	v_mov_b32_e32 v2, v5
	s_delay_alu instid0(VALU_DEP_1) | instskip(NEXT) | instid1(VALU_DEP_3)
	v_mad_u64_u32 v[8:9], null, s14, v11, v[2:3]
	v_sub_co_u32 v2, vcc_lo, v7, v4
	s_delay_alu instid0(VALU_DEP_2) | instskip(NEXT) | instid1(VALU_DEP_2)
	v_sub_co_ci_u32_e32 v3, vcc_lo, v3, v8, vcc_lo
	v_sub_co_u32 v4, vcc_lo, v2, s14
	s_delay_alu instid0(VALU_DEP_2) | instskip(NEXT) | instid1(VALU_DEP_2)
	v_subrev_co_ci_u32_e32 v5, vcc_lo, 0, v3, vcc_lo
	v_cmp_le_u32_e32 vcc_lo, s14, v4
	v_cmp_eq_u32_e64 s2, 0, v3
	v_cndmask_b32_e64 v4, 0, -1, vcc_lo
	v_add_co_u32 v7, vcc_lo, v10, 2
	v_add_co_ci_u32_e32 v8, vcc_lo, 0, v11, vcc_lo
	v_cmp_le_u32_e32 vcc_lo, s14, v2
	v_cndmask_b32_e64 v2, 0, -1, vcc_lo
	v_cmp_eq_u32_e32 vcc_lo, 0, v5
	s_delay_alu instid0(VALU_DEP_2) | instskip(SKIP_3) | instid1(VALU_DEP_3)
	v_cndmask_b32_e64 v2, -1, v2, s2
	v_cndmask_b32_e32 v4, -1, v4, vcc_lo
	v_add_co_u32 v5, vcc_lo, v10, 1
	v_add_co_ci_u32_e32 v9, vcc_lo, 0, v11, vcc_lo
	v_cmp_ne_u32_e32 vcc_lo, 0, v4
	s_delay_alu instid0(VALU_DEP_2) | instskip(NEXT) | instid1(VALU_DEP_4)
	v_cndmask_b32_e32 v3, v9, v8, vcc_lo
	v_cndmask_b32_e32 v4, v5, v7, vcc_lo
	v_cmp_ne_u32_e32 vcc_lo, 0, v2
                                        ; implicit-def: $vgpr7
	s_delay_alu instid0(VALU_DEP_2)
	v_dual_cndmask_b32 v5, v11, v3 :: v_dual_cndmask_b32 v4, v10, v4
.LBB37_3:
	s_or_saveexec_b32 s2, s3
	s_load_b128 s[4:7], s[0:1], 0x0
	s_xor_b32 exec_lo, exec_lo, s2
	s_cbranch_execz .LBB37_5
; %bb.4:
	v_cvt_f32_u32_e32 v2, s14
	s_sub_i32 s0, 0, s14
	s_delay_alu instid0(VALU_DEP_1) | instskip(SKIP_2) | instid1(VALU_DEP_1)
	v_rcp_iflag_f32_e32 v2, v2
	s_waitcnt_depctr 0xfff
	v_mul_f32_e32 v2, 0x4f7ffffe, v2
	v_cvt_u32_f32_e32 v2, v2
	s_delay_alu instid0(VALU_DEP_1) | instskip(NEXT) | instid1(VALU_DEP_1)
	v_mul_lo_u32 v3, s0, v2
	v_mul_hi_u32 v3, v2, v3
	s_delay_alu instid0(VALU_DEP_1) | instskip(NEXT) | instid1(VALU_DEP_1)
	v_add_nc_u32_e32 v2, v2, v3
	v_mul_hi_u32 v2, v7, v2
	s_delay_alu instid0(VALU_DEP_1) | instskip(SKIP_1) | instid1(VALU_DEP_2)
	v_mul_lo_u32 v3, v2, s14
	v_add_nc_u32_e32 v4, 1, v2
	v_sub_nc_u32_e32 v3, v7, v3
	s_delay_alu instid0(VALU_DEP_1) | instskip(SKIP_1) | instid1(VALU_DEP_2)
	v_subrev_nc_u32_e32 v5, s14, v3
	v_cmp_le_u32_e32 vcc_lo, s14, v3
	v_cndmask_b32_e32 v3, v3, v5, vcc_lo
	v_dual_mov_b32 v5, 0 :: v_dual_cndmask_b32 v2, v2, v4
	s_delay_alu instid0(VALU_DEP_2) | instskip(NEXT) | instid1(VALU_DEP_2)
	v_cmp_le_u32_e32 vcc_lo, s14, v3
	v_add_nc_u32_e32 v4, 1, v2
	s_delay_alu instid0(VALU_DEP_1)
	v_cndmask_b32_e32 v4, v2, v4, vcc_lo
.LBB37_5:
	s_or_b32 exec_lo, exec_lo, s2
	s_delay_alu instid0(VALU_DEP_1) | instskip(SKIP_2) | instid1(VALU_DEP_3)
	v_add_co_u32 v2, vcc_lo, v4, v6
	v_add_co_ci_u32_e32 v3, vcc_lo, 0, v5, vcc_lo
	v_cmp_eq_u16_e64 s0, s14, 1
	v_add_co_u32 v2, vcc_lo, v2, 1
	s_delay_alu instid0(VALU_DEP_3) | instskip(SKIP_3) | instid1(VALU_DEP_1)
	v_add_co_ci_u32_e32 v3, vcc_lo, 0, v3, vcc_lo
	s_mul_i32 s2, s15, s8
	s_mov_b32 s11, 0
	s_lshl_b32 s10, s2, 1
	v_cmp_lt_u64_e32 vcc_lo, 1, v[2:3]
	s_mov_b32 s3, s11
	s_and_b32 s12, vcc_lo, s0
	s_mov_b32 s0, -1
	s_and_saveexec_b32 s1, s12
	s_cbranch_execz .LBB37_9
; %bb.6:
	v_lshlrev_b32_e32 v6, 1, v0
	s_lshl_b64 s[12:13], s[10:11], 1
	v_dual_mov_b32 v5, v3 :: v_dual_and_b32 v4, -2, v2
	s_waitcnt lgkmcnt(0)
	s_add_u32 s0, s6, s12
	s_addc_u32 s12, s7, s13
	v_add_co_u32 v8, s0, s0, v6
	s_lshl_b64 s[16:17], s[2:3], 1
	v_add_co_ci_u32_e64 v9, null, s12, 0, s0
	s_lshl_b32 s15, s14, 2
	s_lshl_b64 s[12:13], s[8:9], 1
	s_add_u32 s0, s4, s16
	v_add_co_u32 v10, vcc_lo, v8, s12
	s_addc_u32 s12, s5, s17
	v_add_co_u32 v12, s0, s0, v6
	v_add_co_ci_u32_e32 v11, vcc_lo, s13, v9, vcc_lo
	v_add_co_ci_u32_e64 v13, null, s12, 0, s0
	v_dual_mov_b32 v7, v5 :: v_dual_mov_b32 v6, v4
	s_mov_b64 s[12:13], 0
	s_mov_b32 s16, 0x378e98ab
	s_mov_b32 s18, 0xba1345e1
	;; [unrolled: 1-line block ×3, first 2 shown]
.LBB37_7:                               ; =>This Inner Loop Header: Depth=1
	v_add_co_u32 v14, vcc_lo, v8, s12
	v_add_co_ci_u32_e32 v15, vcc_lo, s13, v9, vcc_lo
	global_load_b32 v16, v[14:15], off
	v_add_co_u32 v14, vcc_lo, v10, s12
	v_add_co_ci_u32_e32 v15, vcc_lo, s13, v11, vcc_lo
	global_load_b32 v14, v[14:15], off
	s_waitcnt vmcnt(1)
	v_lshlrev_b32_e32 v15, 16, v16
	v_and_b32_e32 v16, 0xffff0000, v16
	s_delay_alu instid0(VALU_DEP_1) | instskip(NEXT) | instid1(VALU_DEP_1)
	v_mul_f32_e32 v18, 0x3f3504f3, v16
	v_fma_f32 v20, |v18|, s16, 0xb9c68948
	v_mul_f32_e32 v22, v18, v18
	s_delay_alu instid0(VALU_DEP_2) | instskip(NEXT) | instid1(VALU_DEP_2)
	v_fma_f32 v20, |v18|, v20, 0x3b7cd369
	v_fmaak_f32 v24, s18, v22, 0x3ba10414
	s_delay_alu instid0(VALU_DEP_2) | instskip(NEXT) | instid1(VALU_DEP_2)
	v_fma_f32 v20, |v18|, v20, 0xbcc618b2
	v_fmaak_f32 v24, v22, v24, 0xbcdac9b8
	s_delay_alu instid0(VALU_DEP_2) | instskip(NEXT) | instid1(VALU_DEP_2)
	v_fma_f32 v20, |v18|, v20, 0x3dda74e4
	v_fmaak_f32 v24, v22, v24, 0x3de703be
	s_delay_alu instid0(VALU_DEP_2) | instskip(NEXT) | instid1(VALU_DEP_2)
	v_fma_f32 v20, |v18|, v20, 0x3f228afd
	v_fmaak_f32 v24, v22, v24, 0xbec09330
	s_delay_alu instid0(VALU_DEP_2) | instskip(NEXT) | instid1(VALU_DEP_2)
	v_fma_f32 v20, |v18|, v20, 0x3e03c728
	v_fmaak_f32 v22, v22, v24, 0x3e0375d0
	s_delay_alu instid0(VALU_DEP_2) | instskip(NEXT) | instid1(VALU_DEP_1)
	v_fma_f32 v20, |v18|, v20, |v18|
	v_mul_f32_e32 v26, 0xbfb8aa3b, v20
	v_cmp_nlt_f32_e64 s0, 0x42ce8ed0, v20
	s_delay_alu instid0(VALU_DEP_2) | instskip(SKIP_2) | instid1(VALU_DEP_3)
	v_rndne_f32_e32 v29, v26
	v_mul_f32_e32 v17, 0x3f3504f3, v15
	v_fma_f32 v28, 0xbfb8aa3b, v20, -v26
	v_dual_mul_f32 v15, 0.5, v15 :: v_dual_sub_f32 v26, v26, v29
	s_delay_alu instid0(VALU_DEP_3) | instskip(NEXT) | instid1(VALU_DEP_3)
	v_fma_f32 v19, |v17|, s16, 0xb9c68948
	v_dual_fmac_f32 v28, 0xb2a5705f, v20 :: v_dual_mul_f32 v21, v17, v17
	v_mul_f32_e32 v16, 0.5, v16
	s_delay_alu instid0(VALU_DEP_3) | instskip(NEXT) | instid1(VALU_DEP_3)
	v_fma_f32 v19, |v17|, v19, 0x3b7cd369
	v_dual_add_f32 v26, v26, v28 :: v_dual_fmaak_f32 v23, s18, v21, 0x3ba10414
	s_delay_alu instid0(VALU_DEP_2) | instskip(NEXT) | instid1(VALU_DEP_2)
	v_fma_f32 v19, |v17|, v19, 0xbcc618b2
	v_exp_f32_e32 v26, v26
	s_delay_alu instid0(VALU_DEP_2) | instskip(NEXT) | instid1(VALU_DEP_2)
	v_fmaak_f32 v23, v21, v23, 0xbcdac9b8
	v_fma_f32 v19, |v17|, v19, 0x3dda74e4
	s_delay_alu instid0(VALU_DEP_2) | instskip(NEXT) | instid1(VALU_DEP_2)
	v_fmaak_f32 v23, v21, v23, 0x3de703be
	v_fma_f32 v19, |v17|, v19, 0x3f228afd
	;; [unrolled: 3-line block ×3, first 2 shown]
	s_delay_alu instid0(VALU_DEP_2) | instskip(NEXT) | instid1(VALU_DEP_2)
	v_fmaak_f32 v21, v21, v23, 0x3e0375d0
	v_fma_f32 v19, |v17|, v19, |v17|
	s_delay_alu instid0(VALU_DEP_2) | instskip(NEXT) | instid1(VALU_DEP_2)
	v_fma_f32 v21, |v17|, v21, |v17|
	v_mul_f32_e32 v25, 0xbfb8aa3b, v19
	v_cmp_nlt_f32_e32 vcc_lo, 0x42ce8ed0, v19
	s_delay_alu instid0(VALU_DEP_2) | instskip(SKIP_1) | instid1(VALU_DEP_2)
	v_fma_f32 v27, 0xbfb8aa3b, v19, -v25
	v_rndne_f32_e32 v30, v25
	v_fmac_f32_e32 v27, 0xb2a5705f, v19
	s_delay_alu instid0(VALU_DEP_2) | instskip(SKIP_2) | instid1(VALU_DEP_3)
	v_sub_f32_e32 v25, v25, v30
	v_cvt_i32_f32_e32 v28, v30
	v_fma_f32 v22, |v18|, v22, |v18|
	v_add_f32_e32 v25, v25, v27
	v_cvt_i32_f32_e32 v27, v29
	s_delay_alu instid0(VALU_DEP_2) | instskip(NEXT) | instid1(VALU_DEP_1)
	v_exp_f32_e32 v25, v25
	v_ldexp_f32 v23, v26, v27
	s_delay_alu instid0(VALU_DEP_1) | instskip(SKIP_3) | instid1(VALU_DEP_1)
	v_cndmask_b32_e64 v23, 0, v23, s0
	v_cmp_ngt_f32_e64 s0, 0xc2b17218, v20
	s_waitcnt_depctr 0xfff
	v_ldexp_f32 v24, v25, v28
	v_cndmask_b32_e32 v24, 0, v24, vcc_lo
	v_cmp_ngt_f32_e32 vcc_lo, 0xc2b17218, v19
	v_cndmask_b32_e64 v19, 0x7f800000, v23, s0
	v_cmp_nlt_f32_e64 s0, |v18|, 1.0
	s_delay_alu instid0(VALU_DEP_2) | instskip(SKIP_1) | instid1(VALU_DEP_2)
	v_dual_cndmask_b32 v20, 0x7f800000, v24 :: v_dual_sub_f32 v19, 1.0, v19
	v_cmp_nlt_f32_e64 vcc_lo, |v17|, 1.0
	v_sub_f32_e32 v20, 1.0, v20
	s_delay_alu instid0(VALU_DEP_3) | instskip(NEXT) | instid1(VALU_DEP_2)
	v_cndmask_b32_e64 v19, v22, v19, s0
	v_cndmask_b32_e32 v20, v21, v20, vcc_lo
	s_delay_alu instid0(VALU_DEP_2) | instskip(SKIP_4) | instid1(VALU_DEP_1)
	v_bfi_b32 v18, 0x7fffffff, v19, v18
	s_waitcnt vmcnt(0)
	v_and_b32_e32 v19, 0xffff0000, v14
	v_lshlrev_b32_e32 v14, 16, v14
	v_bfi_b32 v17, 0x7fffffff, v20, v17
	v_dual_add_f32 v18, 1.0, v18 :: v_dual_add_f32 v17, 1.0, v17
	s_delay_alu instid0(VALU_DEP_1) | instskip(NEXT) | instid1(VALU_DEP_1)
	v_dual_mul_f32 v16, v16, v18 :: v_dual_mul_f32 v15, v15, v17
	v_bfe_u32 v17, v16, 16, 1
	v_cmp_o_f32_e64 s0, v16, v16
	s_delay_alu instid0(VALU_DEP_3) | instskip(NEXT) | instid1(VALU_DEP_3)
	v_bfe_u32 v18, v15, 16, 1
	v_add3_u32 v17, v16, v17, 0x7fff
	v_cmp_o_f32_e32 vcc_lo, v15, v15
	s_delay_alu instid0(VALU_DEP_3) | instskip(NEXT) | instid1(VALU_DEP_3)
	v_add3_u32 v18, v15, v18, 0x7fff
	v_and_b32_e32 v17, 0xffff0000, v17
	s_delay_alu instid0(VALU_DEP_2) | instskip(NEXT) | instid1(VALU_DEP_2)
	v_and_b32_e32 v18, 0xffff0000, v18
	v_cndmask_b32_e64 v15, 0x7fc00000, v17, s0
	s_delay_alu instid0(VALU_DEP_1) | instskip(SKIP_2) | instid1(VALU_DEP_3)
	v_dual_cndmask_b32 v16, 0x7fc00000, v18 :: v_dual_mul_f32 v15, v15, v19
	v_add_co_u32 v6, vcc_lo, v6, -2
	v_add_co_ci_u32_e32 v7, vcc_lo, -1, v7, vcc_lo
	v_mul_f32_e32 v14, v16, v14
	s_delay_alu instid0(VALU_DEP_4) | instskip(SKIP_1) | instid1(VALU_DEP_3)
	v_bfe_u32 v16, v15, 16, 1
	v_cmp_o_f32_e64 s0, v15, v15
	v_bfe_u32 v17, v14, 16, 1
	s_delay_alu instid0(VALU_DEP_3) | instskip(SKIP_1) | instid1(VALU_DEP_3)
	v_add3_u32 v16, v15, v16, 0x7fff
	v_cmp_o_f32_e32 vcc_lo, v14, v14
	v_add3_u32 v17, v14, v17, 0x7fff
	s_delay_alu instid0(VALU_DEP_3) | instskip(NEXT) | instid1(VALU_DEP_2)
	v_lshrrev_b32_e32 v16, 16, v16
	v_lshrrev_b32_e32 v17, 16, v17
	s_delay_alu instid0(VALU_DEP_2) | instskip(SKIP_1) | instid1(VALU_DEP_3)
	v_cndmask_b32_e64 v16, 0x7fc0, v16, s0
	v_cmp_eq_u64_e64 s0, 0, v[6:7]
	v_cndmask_b32_e32 v17, 0x7fc0, v17, vcc_lo
	v_add_co_u32 v14, vcc_lo, v12, s12
	v_add_co_ci_u32_e32 v15, vcc_lo, s13, v13, vcc_lo
	s_delay_alu instid0(VALU_DEP_3)
	v_perm_b32 v16, v16, v17, 0x5040100
	s_add_u32 s12, s12, s15
	s_addc_u32 s13, s13, 0
	s_or_b32 s17, s0, s17
	global_store_b32 v[14:15], v16, off
	s_and_not1_b32 exec_lo, exec_lo, s17
	s_cbranch_execnz .LBB37_7
; %bb.8:
	s_or_b32 exec_lo, exec_lo, s17
	v_mad_u64_u32 v[6:7], null, v4, s14, v[0:1]
	v_cmp_ne_u64_e32 vcc_lo, v[2:3], v[4:5]
	s_or_not1_b32 s0, vcc_lo, exec_lo
	s_delay_alu instid0(VALU_DEP_2) | instskip(NEXT) | instid1(VALU_DEP_1)
	v_mov_b32_e32 v0, v7
	v_mad_u64_u32 v[7:8], null, v5, s14, v[0:1]
	s_delay_alu instid0(VALU_DEP_1)
	v_dual_mov_b32 v0, v6 :: v_dual_mov_b32 v1, v7
.LBB37_9:
	s_or_b32 exec_lo, exec_lo, s1
	s_delay_alu instid0(SALU_CYCLE_1)
	s_and_b32 exec_lo, exec_lo, s0
	s_cbranch_execz .LBB37_16
; %bb.10:
	s_lshl_b64 s[10:11], s[10:11], 1
	v_lshlrev_b64 v[2:3], 1, v[0:1]
	s_waitcnt lgkmcnt(0)
	s_add_u32 s1, s6, s10
	s_addc_u32 s6, s7, s11
	s_lshl_b64 s[10:11], s[8:9], 1
	s_mov_b32 s12, 0xba1345e1
	s_add_u32 s7, s1, s10
	s_addc_u32 s10, s6, s11
	s_lshl_b64 s[2:3], s[2:3], 1
	s_mov_b32 s11, 0x378e98ab
	s_add_u32 s2, s4, s2
	s_addc_u32 s3, s5, s3
	s_lshl_b32 s4, s14, 1
	s_mov_b32 s5, 0
	s_branch .LBB37_12
.LBB37_11:                              ;   in Loop: Header=BB37_12 Depth=1
	s_or_b32 exec_lo, exec_lo, s0
	s_delay_alu instid0(VALU_DEP_1) | instskip(SKIP_2) | instid1(VALU_DEP_2)
	v_bfi_b32 v6, 0x7fffffff, v7, v6
	s_waitcnt vmcnt(0)
	v_dual_mul_f32 v5, 0.5, v5 :: v_dual_lshlrev_b32 v4, 16, v4
	v_add_f32_e32 v6, 1.0, v6
	s_delay_alu instid0(VALU_DEP_1) | instskip(NEXT) | instid1(VALU_DEP_1)
	v_mul_f32_e32 v5, v5, v6
	v_bfe_u32 v6, v5, 16, 1
	v_cmp_o_f32_e32 vcc_lo, v5, v5
	s_delay_alu instid0(VALU_DEP_2) | instskip(NEXT) | instid1(VALU_DEP_1)
	v_add3_u32 v6, v5, v6, 0x7fff
	v_and_b32_e32 v6, 0xffff0000, v6
	s_delay_alu instid0(VALU_DEP_1) | instskip(SKIP_2) | instid1(VALU_DEP_3)
	v_cndmask_b32_e32 v5, 0x7fc00000, v6, vcc_lo
	v_add_co_u32 v0, vcc_lo, v0, s14
	v_add_co_ci_u32_e32 v1, vcc_lo, 0, v1, vcc_lo
	v_mul_f32_e32 v6, v5, v4
	s_delay_alu instid0(VALU_DEP_1) | instskip(SKIP_1) | instid1(VALU_DEP_2)
	v_bfe_u32 v4, v6, 16, 1
	v_cmp_o_f32_e64 s0, v6, v6
	v_add3_u32 v4, v6, v4, 0x7fff
	s_delay_alu instid0(VALU_DEP_1) | instskip(SKIP_3) | instid1(VALU_DEP_4)
	v_lshrrev_b32_e32 v7, 16, v4
	v_add_co_u32 v4, vcc_lo, s2, v2
	v_add_co_ci_u32_e32 v5, vcc_lo, s3, v3, vcc_lo
	v_cmp_le_i64_e32 vcc_lo, s[8:9], v[0:1]
	v_cndmask_b32_e64 v6, 0x7fc0, v7, s0
	v_add_co_u32 v2, s0, v2, s4
	s_delay_alu instid0(VALU_DEP_1)
	v_add_co_ci_u32_e64 v3, s0, 0, v3, s0
	s_or_b32 s5, vcc_lo, s5
	global_store_b16 v[4:5], v6, off
	s_and_not1_b32 exec_lo, exec_lo, s5
	s_cbranch_execz .LBB37_16
.LBB37_12:                              ; =>This Inner Loop Header: Depth=1
	v_add_co_u32 v4, vcc_lo, s1, v2
	v_add_co_ci_u32_e32 v5, vcc_lo, s6, v3, vcc_lo
                                        ; implicit-def: $vgpr7
	global_load_u16 v6, v[4:5], off
	v_add_co_u32 v4, vcc_lo, s7, v2
	v_add_co_ci_u32_e32 v5, vcc_lo, s10, v3, vcc_lo
	global_load_u16 v4, v[4:5], off
	s_waitcnt vmcnt(1)
	v_lshlrev_b32_e32 v5, 16, v6
	s_delay_alu instid0(VALU_DEP_1) | instskip(NEXT) | instid1(VALU_DEP_1)
	v_mul_f32_e32 v6, 0x3f3504f3, v5
	v_cmp_nlt_f32_e64 s0, |v6|, 1.0
	s_delay_alu instid0(VALU_DEP_1) | instskip(NEXT) | instid1(SALU_CYCLE_1)
	s_and_saveexec_b32 s13, s0
	s_xor_b32 s0, exec_lo, s13
	s_cbranch_execz .LBB37_14
; %bb.13:                               ;   in Loop: Header=BB37_12 Depth=1
	v_fma_f32 v7, |v6|, s11, 0xb9c68948
	s_delay_alu instid0(VALU_DEP_1) | instskip(NEXT) | instid1(VALU_DEP_1)
	v_fma_f32 v7, |v6|, v7, 0x3b7cd369
	v_fma_f32 v7, |v6|, v7, 0xbcc618b2
	s_delay_alu instid0(VALU_DEP_1) | instskip(NEXT) | instid1(VALU_DEP_1)
	v_fma_f32 v7, |v6|, v7, 0x3dda74e4
	;; [unrolled: 3-line block ×3, first 2 shown]
	v_fma_f32 v7, |v6|, v7, |v6|
	s_delay_alu instid0(VALU_DEP_1) | instskip(SKIP_1) | instid1(VALU_DEP_2)
	v_mul_f32_e32 v8, 0xbfb8aa3b, v7
	v_cmp_nlt_f32_e32 vcc_lo, 0x42ce8ed0, v7
	v_fma_f32 v9, 0xbfb8aa3b, v7, -v8
	v_rndne_f32_e32 v10, v8
	s_delay_alu instid0(VALU_DEP_1) | instskip(NEXT) | instid1(VALU_DEP_1)
	v_dual_fmac_f32 v9, 0xb2a5705f, v7 :: v_dual_sub_f32 v8, v8, v10
	v_add_f32_e32 v8, v8, v9
	v_cvt_i32_f32_e32 v9, v10
	s_delay_alu instid0(VALU_DEP_2) | instskip(SKIP_2) | instid1(VALU_DEP_1)
	v_exp_f32_e32 v8, v8
	s_waitcnt_depctr 0xfff
	v_ldexp_f32 v8, v8, v9
	v_cndmask_b32_e32 v8, 0, v8, vcc_lo
	v_cmp_ngt_f32_e32 vcc_lo, 0xc2b17218, v7
	s_delay_alu instid0(VALU_DEP_2) | instskip(NEXT) | instid1(VALU_DEP_1)
	v_cndmask_b32_e32 v7, 0x7f800000, v8, vcc_lo
	v_sub_f32_e32 v7, 1.0, v7
.LBB37_14:                              ;   in Loop: Header=BB37_12 Depth=1
	s_and_not1_saveexec_b32 s0, s0
	s_cbranch_execz .LBB37_11
; %bb.15:                               ;   in Loop: Header=BB37_12 Depth=1
	v_mul_f32_e32 v7, v6, v6
	s_delay_alu instid0(VALU_DEP_1) | instskip(NEXT) | instid1(VALU_DEP_1)
	v_fmaak_f32 v8, s12, v7, 0x3ba10414
	v_fmaak_f32 v8, v7, v8, 0xbcdac9b8
	s_delay_alu instid0(VALU_DEP_1) | instskip(NEXT) | instid1(VALU_DEP_1)
	v_fmaak_f32 v8, v7, v8, 0x3de703be
	v_fmaak_f32 v8, v7, v8, 0xbec09330
	s_delay_alu instid0(VALU_DEP_1) | instskip(NEXT) | instid1(VALU_DEP_1)
	v_fmaak_f32 v7, v7, v8, 0x3e0375d0
	v_fma_f32 v7, |v6|, v7, |v6|
	s_branch .LBB37_11
.LBB37_16:
	s_nop 0
	s_sendmsg sendmsg(MSG_DEALLOC_VGPRS)
	s_endpgm
	.section	.rodata,"a",@progbits
	.p2align	6, 0x0
	.amdhsa_kernel _ZN4vllm18act_and_mul_kernelIN3c108BFloat16E15__hip_bfloat162TnPFT_RKS4_EXadL_ZNS_11gelu_kernelIS2_EES4_S6_EETnPFT0_RKSA_EXadL_ZNS_18packed_gelu_kernelIS3_EES4_S6_EELb1ELb0ELb0ELb0EEEvPS4_PS5_if
		.amdhsa_group_segment_fixed_size 0
		.amdhsa_private_segment_fixed_size 0
		.amdhsa_kernarg_size 280
		.amdhsa_user_sgpr_count 15
		.amdhsa_user_sgpr_dispatch_ptr 0
		.amdhsa_user_sgpr_queue_ptr 0
		.amdhsa_user_sgpr_kernarg_segment_ptr 1
		.amdhsa_user_sgpr_dispatch_id 0
		.amdhsa_user_sgpr_private_segment_size 0
		.amdhsa_wavefront_size32 1
		.amdhsa_uses_dynamic_stack 0
		.amdhsa_enable_private_segment 0
		.amdhsa_system_sgpr_workgroup_id_x 1
		.amdhsa_system_sgpr_workgroup_id_y 0
		.amdhsa_system_sgpr_workgroup_id_z 0
		.amdhsa_system_sgpr_workgroup_info 0
		.amdhsa_system_vgpr_workitem_id 0
		.amdhsa_next_free_vgpr 31
		.amdhsa_next_free_sgpr 19
		.amdhsa_reserve_vcc 1
		.amdhsa_float_round_mode_32 0
		.amdhsa_float_round_mode_16_64 0
		.amdhsa_float_denorm_mode_32 3
		.amdhsa_float_denorm_mode_16_64 3
		.amdhsa_dx10_clamp 1
		.amdhsa_ieee_mode 1
		.amdhsa_fp16_overflow 0
		.amdhsa_workgroup_processor_mode 1
		.amdhsa_memory_ordered 1
		.amdhsa_forward_progress 0
		.amdhsa_shared_vgpr_count 0
		.amdhsa_exception_fp_ieee_invalid_op 0
		.amdhsa_exception_fp_denorm_src 0
		.amdhsa_exception_fp_ieee_div_zero 0
		.amdhsa_exception_fp_ieee_overflow 0
		.amdhsa_exception_fp_ieee_underflow 0
		.amdhsa_exception_fp_ieee_inexact 0
		.amdhsa_exception_int_div_zero 0
	.end_amdhsa_kernel
	.section	.text._ZN4vllm18act_and_mul_kernelIN3c108BFloat16E15__hip_bfloat162TnPFT_RKS4_EXadL_ZNS_11gelu_kernelIS2_EES4_S6_EETnPFT0_RKSA_EXadL_ZNS_18packed_gelu_kernelIS3_EES4_S6_EELb1ELb0ELb0ELb0EEEvPS4_PS5_if,"axG",@progbits,_ZN4vllm18act_and_mul_kernelIN3c108BFloat16E15__hip_bfloat162TnPFT_RKS4_EXadL_ZNS_11gelu_kernelIS2_EES4_S6_EETnPFT0_RKSA_EXadL_ZNS_18packed_gelu_kernelIS3_EES4_S6_EELb1ELb0ELb0ELb0EEEvPS4_PS5_if,comdat
.Lfunc_end37:
	.size	_ZN4vllm18act_and_mul_kernelIN3c108BFloat16E15__hip_bfloat162TnPFT_RKS4_EXadL_ZNS_11gelu_kernelIS2_EES4_S6_EETnPFT0_RKSA_EXadL_ZNS_18packed_gelu_kernelIS3_EES4_S6_EELb1ELb0ELb0ELb0EEEvPS4_PS5_if, .Lfunc_end37-_ZN4vllm18act_and_mul_kernelIN3c108BFloat16E15__hip_bfloat162TnPFT_RKS4_EXadL_ZNS_11gelu_kernelIS2_EES4_S6_EETnPFT0_RKSA_EXadL_ZNS_18packed_gelu_kernelIS3_EES4_S6_EELb1ELb0ELb0ELb0EEEvPS4_PS5_if
                                        ; -- End function
	.section	.AMDGPU.csdata,"",@progbits
; Kernel info:
; codeLenInByte = 2928
; NumSgprs: 21
; NumVgprs: 31
; ScratchSize: 0
; MemoryBound: 0
; FloatMode: 240
; IeeeMode: 1
; LDSByteSize: 0 bytes/workgroup (compile time only)
; SGPRBlocks: 2
; VGPRBlocks: 3
; NumSGPRsForWavesPerEU: 21
; NumVGPRsForWavesPerEU: 31
; Occupancy: 16
; WaveLimiterHint : 0
; COMPUTE_PGM_RSRC2:SCRATCH_EN: 0
; COMPUTE_PGM_RSRC2:USER_SGPR: 15
; COMPUTE_PGM_RSRC2:TRAP_HANDLER: 0
; COMPUTE_PGM_RSRC2:TGID_X_EN: 1
; COMPUTE_PGM_RSRC2:TGID_Y_EN: 0
; COMPUTE_PGM_RSRC2:TGID_Z_EN: 0
; COMPUTE_PGM_RSRC2:TIDIG_COMP_CNT: 0
	.section	.text._ZN4vllm18act_and_mul_kernelIf15HIP_vector_typeIfLj2EETnPFT_RKS3_EXadL_ZNS_16gelu_tanh_kernelIfEES3_S5_EETnPFT0_RKS9_EXadL_ZNS_23packed_gelu_tanh_kernelIS2_EES3_S5_EELb1ELb1ELb0ELb1EEEvPS3_PS4_if,"axG",@progbits,_ZN4vllm18act_and_mul_kernelIf15HIP_vector_typeIfLj2EETnPFT_RKS3_EXadL_ZNS_16gelu_tanh_kernelIfEES3_S5_EETnPFT0_RKS9_EXadL_ZNS_23packed_gelu_tanh_kernelIS2_EES3_S5_EELb1ELb1ELb0ELb1EEEvPS3_PS4_if,comdat
	.protected	_ZN4vllm18act_and_mul_kernelIf15HIP_vector_typeIfLj2EETnPFT_RKS3_EXadL_ZNS_16gelu_tanh_kernelIfEES3_S5_EETnPFT0_RKS9_EXadL_ZNS_23packed_gelu_tanh_kernelIS2_EES3_S5_EELb1ELb1ELb0ELb1EEEvPS3_PS4_if ; -- Begin function _ZN4vllm18act_and_mul_kernelIf15HIP_vector_typeIfLj2EETnPFT_RKS3_EXadL_ZNS_16gelu_tanh_kernelIfEES3_S5_EETnPFT0_RKS9_EXadL_ZNS_23packed_gelu_tanh_kernelIS2_EES3_S5_EELb1ELb1ELb0ELb1EEEvPS3_PS4_if
	.globl	_ZN4vllm18act_and_mul_kernelIf15HIP_vector_typeIfLj2EETnPFT_RKS3_EXadL_ZNS_16gelu_tanh_kernelIfEES3_S5_EETnPFT0_RKS9_EXadL_ZNS_23packed_gelu_tanh_kernelIS2_EES3_S5_EELb1ELb1ELb0ELb1EEEvPS3_PS4_if
	.p2align	8
	.type	_ZN4vllm18act_and_mul_kernelIf15HIP_vector_typeIfLj2EETnPFT_RKS3_EXadL_ZNS_16gelu_tanh_kernelIfEES3_S5_EETnPFT0_RKS9_EXadL_ZNS_23packed_gelu_tanh_kernelIS2_EES3_S5_EELb1ELb1ELb0ELb1EEEvPS3_PS4_if,@function
_ZN4vllm18act_and_mul_kernelIf15HIP_vector_typeIfLj2EETnPFT_RKS3_EXadL_ZNS_16gelu_tanh_kernelIfEES3_S5_EETnPFT0_RKS9_EXadL_ZNS_23packed_gelu_tanh_kernelIS2_EES3_S5_EELb1ELb1ELb0ELb1EEEvPS3_PS4_if: ; @_ZN4vllm18act_and_mul_kernelIf15HIP_vector_typeIfLj2EETnPFT_RKS3_EXadL_ZNS_16gelu_tanh_kernelIfEES3_S5_EETnPFT0_RKS9_EXadL_ZNS_23packed_gelu_tanh_kernelIS2_EES3_S5_EELb1ELb1ELb0ELb1EEEvPS3_PS4_if
; %bb.0:
	s_load_b32 s2, s[0:1], 0x10
	s_mov_b32 s32, 0
	s_waitcnt lgkmcnt(0)
	s_ashr_i32 s3, s2, 31
	s_delay_alu instid0(SALU_CYCLE_1) | instskip(NEXT) | instid1(SALU_CYCLE_1)
	s_lshr_b32 s3, s3, 29
	s_add_i32 s2, s2, s3
	s_delay_alu instid0(SALU_CYCLE_1) | instskip(NEXT) | instid1(SALU_CYCLE_1)
	s_ashr_i32 s2, s2, 3
	v_cmp_gt_i32_e32 vcc_lo, s2, v0
	s_and_saveexec_b32 s2, vcc_lo
	s_cbranch_execz .LBB38_2
; %bb.1:
	s_add_u32 s8, s0, 24
	s_addc_u32 s9, s1, 0
	s_getpc_b64 s[0:1]
	s_add_u32 s0, s0, .str@rel32@lo+4
	s_addc_u32 s1, s1, .str@rel32@hi+12
	s_getpc_b64 s[2:3]
	s_add_u32 s2, s2, __PRETTY_FUNCTION__._ZN4vllm5ld256ERNS_7u32x8_tEPKS0_@rel32@lo+4
	s_addc_u32 s3, s3, __PRETTY_FUNCTION__._ZN4vllm5ld256ERNS_7u32x8_tEPKS0_@rel32@hi+12
	v_dual_mov_b32 v0, s0 :: v_dual_mov_b32 v1, s1
	v_dual_mov_b32 v2, 0x93 :: v_dual_mov_b32 v3, s2
	v_mov_b32_e32 v4, s3
	s_getpc_b64 s[4:5]
	s_add_u32 s4, s4, __assert_fail@rel32@lo+4
	s_addc_u32 s5, s5, __assert_fail@rel32@hi+12
	s_delay_alu instid0(SALU_CYCLE_1)
	s_swappc_b64 s[30:31], s[4:5]
	; divergent unreachable
.LBB38_2:
	s_endpgm
	.section	.rodata,"a",@progbits
	.p2align	6, 0x0
	.amdhsa_kernel _ZN4vllm18act_and_mul_kernelIf15HIP_vector_typeIfLj2EETnPFT_RKS3_EXadL_ZNS_16gelu_tanh_kernelIfEES3_S5_EETnPFT0_RKS9_EXadL_ZNS_23packed_gelu_tanh_kernelIS2_EES3_S5_EELb1ELb1ELb0ELb1EEEvPS3_PS4_if
		.amdhsa_group_segment_fixed_size 0
		.amdhsa_private_segment_fixed_size 64
		.amdhsa_kernarg_size 280
		.amdhsa_user_sgpr_count 15
		.amdhsa_user_sgpr_dispatch_ptr 0
		.amdhsa_user_sgpr_queue_ptr 0
		.amdhsa_user_sgpr_kernarg_segment_ptr 1
		.amdhsa_user_sgpr_dispatch_id 0
		.amdhsa_user_sgpr_private_segment_size 0
		.amdhsa_wavefront_size32 1
		.amdhsa_uses_dynamic_stack 0
		.amdhsa_enable_private_segment 1
		.amdhsa_system_sgpr_workgroup_id_x 1
		.amdhsa_system_sgpr_workgroup_id_y 0
		.amdhsa_system_sgpr_workgroup_id_z 0
		.amdhsa_system_sgpr_workgroup_info 0
		.amdhsa_system_vgpr_workitem_id 0
		.amdhsa_next_free_vgpr 51
		.amdhsa_next_free_sgpr 34
		.amdhsa_reserve_vcc 1
		.amdhsa_float_round_mode_32 0
		.amdhsa_float_round_mode_16_64 0
		.amdhsa_float_denorm_mode_32 3
		.amdhsa_float_denorm_mode_16_64 3
		.amdhsa_dx10_clamp 1
		.amdhsa_ieee_mode 1
		.amdhsa_fp16_overflow 0
		.amdhsa_workgroup_processor_mode 1
		.amdhsa_memory_ordered 1
		.amdhsa_forward_progress 0
		.amdhsa_shared_vgpr_count 0
		.amdhsa_exception_fp_ieee_invalid_op 0
		.amdhsa_exception_fp_denorm_src 0
		.amdhsa_exception_fp_ieee_div_zero 0
		.amdhsa_exception_fp_ieee_overflow 0
		.amdhsa_exception_fp_ieee_underflow 0
		.amdhsa_exception_fp_ieee_inexact 0
		.amdhsa_exception_int_div_zero 0
	.end_amdhsa_kernel
	.section	.text._ZN4vllm18act_and_mul_kernelIf15HIP_vector_typeIfLj2EETnPFT_RKS3_EXadL_ZNS_16gelu_tanh_kernelIfEES3_S5_EETnPFT0_RKS9_EXadL_ZNS_23packed_gelu_tanh_kernelIS2_EES3_S5_EELb1ELb1ELb0ELb1EEEvPS3_PS4_if,"axG",@progbits,_ZN4vllm18act_and_mul_kernelIf15HIP_vector_typeIfLj2EETnPFT_RKS3_EXadL_ZNS_16gelu_tanh_kernelIfEES3_S5_EETnPFT0_RKS9_EXadL_ZNS_23packed_gelu_tanh_kernelIS2_EES3_S5_EELb1ELb1ELb0ELb1EEEvPS3_PS4_if,comdat
.Lfunc_end38:
	.size	_ZN4vllm18act_and_mul_kernelIf15HIP_vector_typeIfLj2EETnPFT_RKS3_EXadL_ZNS_16gelu_tanh_kernelIfEES3_S5_EETnPFT0_RKS9_EXadL_ZNS_23packed_gelu_tanh_kernelIS2_EES3_S5_EELb1ELb1ELb0ELb1EEEvPS3_PS4_if, .Lfunc_end38-_ZN4vllm18act_and_mul_kernelIf15HIP_vector_typeIfLj2EETnPFT_RKS3_EXadL_ZNS_16gelu_tanh_kernelIfEES3_S5_EETnPFT0_RKS9_EXadL_ZNS_23packed_gelu_tanh_kernelIS2_EES3_S5_EELb1ELb1ELb0ELb1EEEvPS3_PS4_if
                                        ; -- End function
	.section	.AMDGPU.csdata,"",@progbits
; Kernel info:
; codeLenInByte = 156
; NumSgprs: 36
; NumVgprs: 51
; ScratchSize: 64
; MemoryBound: 0
; FloatMode: 240
; IeeeMode: 1
; LDSByteSize: 0 bytes/workgroup (compile time only)
; SGPRBlocks: 4
; VGPRBlocks: 6
; NumSGPRsForWavesPerEU: 36
; NumVGPRsForWavesPerEU: 51
; Occupancy: 16
; WaveLimiterHint : 1
; COMPUTE_PGM_RSRC2:SCRATCH_EN: 1
; COMPUTE_PGM_RSRC2:USER_SGPR: 15
; COMPUTE_PGM_RSRC2:TRAP_HANDLER: 0
; COMPUTE_PGM_RSRC2:TGID_X_EN: 1
; COMPUTE_PGM_RSRC2:TGID_Y_EN: 0
; COMPUTE_PGM_RSRC2:TGID_Z_EN: 0
; COMPUTE_PGM_RSRC2:TIDIG_COMP_CNT: 0
	.section	.text._ZN4vllm18act_and_mul_kernelIN3c104HalfE7__half2TnPFT_RKS4_EXadL_ZNS_16gelu_tanh_kernelIS2_EES4_S6_EETnPFT0_RKSA_EXadL_ZNS_23packed_gelu_tanh_kernelIS3_EES4_S6_EELb1ELb1ELb0ELb1EEEvPS4_PS5_if,"axG",@progbits,_ZN4vllm18act_and_mul_kernelIN3c104HalfE7__half2TnPFT_RKS4_EXadL_ZNS_16gelu_tanh_kernelIS2_EES4_S6_EETnPFT0_RKSA_EXadL_ZNS_23packed_gelu_tanh_kernelIS3_EES4_S6_EELb1ELb1ELb0ELb1EEEvPS4_PS5_if,comdat
	.protected	_ZN4vllm18act_and_mul_kernelIN3c104HalfE7__half2TnPFT_RKS4_EXadL_ZNS_16gelu_tanh_kernelIS2_EES4_S6_EETnPFT0_RKSA_EXadL_ZNS_23packed_gelu_tanh_kernelIS3_EES4_S6_EELb1ELb1ELb0ELb1EEEvPS4_PS5_if ; -- Begin function _ZN4vllm18act_and_mul_kernelIN3c104HalfE7__half2TnPFT_RKS4_EXadL_ZNS_16gelu_tanh_kernelIS2_EES4_S6_EETnPFT0_RKSA_EXadL_ZNS_23packed_gelu_tanh_kernelIS3_EES4_S6_EELb1ELb1ELb0ELb1EEEvPS4_PS5_if
	.globl	_ZN4vllm18act_and_mul_kernelIN3c104HalfE7__half2TnPFT_RKS4_EXadL_ZNS_16gelu_tanh_kernelIS2_EES4_S6_EETnPFT0_RKSA_EXadL_ZNS_23packed_gelu_tanh_kernelIS3_EES4_S6_EELb1ELb1ELb0ELb1EEEvPS4_PS5_if
	.p2align	8
	.type	_ZN4vllm18act_and_mul_kernelIN3c104HalfE7__half2TnPFT_RKS4_EXadL_ZNS_16gelu_tanh_kernelIS2_EES4_S6_EETnPFT0_RKSA_EXadL_ZNS_23packed_gelu_tanh_kernelIS3_EES4_S6_EELb1ELb1ELb0ELb1EEEvPS4_PS5_if,@function
_ZN4vllm18act_and_mul_kernelIN3c104HalfE7__half2TnPFT_RKS4_EXadL_ZNS_16gelu_tanh_kernelIS2_EES4_S6_EETnPFT0_RKSA_EXadL_ZNS_23packed_gelu_tanh_kernelIS3_EES4_S6_EELb1ELb1ELb0ELb1EEEvPS4_PS5_if: ; @_ZN4vllm18act_and_mul_kernelIN3c104HalfE7__half2TnPFT_RKS4_EXadL_ZNS_16gelu_tanh_kernelIS2_EES4_S6_EETnPFT0_RKSA_EXadL_ZNS_23packed_gelu_tanh_kernelIS3_EES4_S6_EELb1ELb1ELb0ELb1EEEvPS4_PS5_if
; %bb.0:
	s_load_b32 s2, s[0:1], 0x10
	s_mov_b32 s32, 0
	s_waitcnt lgkmcnt(0)
	s_ashr_i32 s3, s2, 31
	s_delay_alu instid0(SALU_CYCLE_1) | instskip(NEXT) | instid1(SALU_CYCLE_1)
	s_lshr_b32 s3, s3, 28
	s_add_i32 s2, s2, s3
	s_delay_alu instid0(SALU_CYCLE_1) | instskip(NEXT) | instid1(SALU_CYCLE_1)
	s_ashr_i32 s2, s2, 4
	v_cmp_gt_i32_e32 vcc_lo, s2, v0
	s_and_saveexec_b32 s2, vcc_lo
	s_cbranch_execz .LBB39_2
; %bb.1:
	s_add_u32 s8, s0, 24
	s_addc_u32 s9, s1, 0
	s_getpc_b64 s[0:1]
	s_add_u32 s0, s0, .str@rel32@lo+4
	s_addc_u32 s1, s1, .str@rel32@hi+12
	s_getpc_b64 s[2:3]
	s_add_u32 s2, s2, __PRETTY_FUNCTION__._ZN4vllm5ld256ERNS_7u32x8_tEPKS0_@rel32@lo+4
	s_addc_u32 s3, s3, __PRETTY_FUNCTION__._ZN4vllm5ld256ERNS_7u32x8_tEPKS0_@rel32@hi+12
	v_dual_mov_b32 v0, s0 :: v_dual_mov_b32 v1, s1
	v_dual_mov_b32 v2, 0x93 :: v_dual_mov_b32 v3, s2
	v_mov_b32_e32 v4, s3
	s_getpc_b64 s[4:5]
	s_add_u32 s4, s4, __assert_fail@rel32@lo+4
	s_addc_u32 s5, s5, __assert_fail@rel32@hi+12
	s_delay_alu instid0(SALU_CYCLE_1)
	s_swappc_b64 s[30:31], s[4:5]
	; divergent unreachable
.LBB39_2:
	s_endpgm
	.section	.rodata,"a",@progbits
	.p2align	6, 0x0
	.amdhsa_kernel _ZN4vllm18act_and_mul_kernelIN3c104HalfE7__half2TnPFT_RKS4_EXadL_ZNS_16gelu_tanh_kernelIS2_EES4_S6_EETnPFT0_RKSA_EXadL_ZNS_23packed_gelu_tanh_kernelIS3_EES4_S6_EELb1ELb1ELb0ELb1EEEvPS4_PS5_if
		.amdhsa_group_segment_fixed_size 0
		.amdhsa_private_segment_fixed_size 64
		.amdhsa_kernarg_size 280
		.amdhsa_user_sgpr_count 15
		.amdhsa_user_sgpr_dispatch_ptr 0
		.amdhsa_user_sgpr_queue_ptr 0
		.amdhsa_user_sgpr_kernarg_segment_ptr 1
		.amdhsa_user_sgpr_dispatch_id 0
		.amdhsa_user_sgpr_private_segment_size 0
		.amdhsa_wavefront_size32 1
		.amdhsa_uses_dynamic_stack 0
		.amdhsa_enable_private_segment 1
		.amdhsa_system_sgpr_workgroup_id_x 1
		.amdhsa_system_sgpr_workgroup_id_y 0
		.amdhsa_system_sgpr_workgroup_id_z 0
		.amdhsa_system_sgpr_workgroup_info 0
		.amdhsa_system_vgpr_workitem_id 0
		.amdhsa_next_free_vgpr 51
		.amdhsa_next_free_sgpr 34
		.amdhsa_reserve_vcc 1
		.amdhsa_float_round_mode_32 0
		.amdhsa_float_round_mode_16_64 0
		.amdhsa_float_denorm_mode_32 3
		.amdhsa_float_denorm_mode_16_64 3
		.amdhsa_dx10_clamp 1
		.amdhsa_ieee_mode 1
		.amdhsa_fp16_overflow 0
		.amdhsa_workgroup_processor_mode 1
		.amdhsa_memory_ordered 1
		.amdhsa_forward_progress 0
		.amdhsa_shared_vgpr_count 0
		.amdhsa_exception_fp_ieee_invalid_op 0
		.amdhsa_exception_fp_denorm_src 0
		.amdhsa_exception_fp_ieee_div_zero 0
		.amdhsa_exception_fp_ieee_overflow 0
		.amdhsa_exception_fp_ieee_underflow 0
		.amdhsa_exception_fp_ieee_inexact 0
		.amdhsa_exception_int_div_zero 0
	.end_amdhsa_kernel
	.section	.text._ZN4vllm18act_and_mul_kernelIN3c104HalfE7__half2TnPFT_RKS4_EXadL_ZNS_16gelu_tanh_kernelIS2_EES4_S6_EETnPFT0_RKSA_EXadL_ZNS_23packed_gelu_tanh_kernelIS3_EES4_S6_EELb1ELb1ELb0ELb1EEEvPS4_PS5_if,"axG",@progbits,_ZN4vllm18act_and_mul_kernelIN3c104HalfE7__half2TnPFT_RKS4_EXadL_ZNS_16gelu_tanh_kernelIS2_EES4_S6_EETnPFT0_RKSA_EXadL_ZNS_23packed_gelu_tanh_kernelIS3_EES4_S6_EELb1ELb1ELb0ELb1EEEvPS4_PS5_if,comdat
.Lfunc_end39:
	.size	_ZN4vllm18act_and_mul_kernelIN3c104HalfE7__half2TnPFT_RKS4_EXadL_ZNS_16gelu_tanh_kernelIS2_EES4_S6_EETnPFT0_RKSA_EXadL_ZNS_23packed_gelu_tanh_kernelIS3_EES4_S6_EELb1ELb1ELb0ELb1EEEvPS4_PS5_if, .Lfunc_end39-_ZN4vllm18act_and_mul_kernelIN3c104HalfE7__half2TnPFT_RKS4_EXadL_ZNS_16gelu_tanh_kernelIS2_EES4_S6_EETnPFT0_RKSA_EXadL_ZNS_23packed_gelu_tanh_kernelIS3_EES4_S6_EELb1ELb1ELb0ELb1EEEvPS4_PS5_if
                                        ; -- End function
	.section	.AMDGPU.csdata,"",@progbits
; Kernel info:
; codeLenInByte = 156
; NumSgprs: 36
; NumVgprs: 51
; ScratchSize: 64
; MemoryBound: 0
; FloatMode: 240
; IeeeMode: 1
; LDSByteSize: 0 bytes/workgroup (compile time only)
; SGPRBlocks: 4
; VGPRBlocks: 6
; NumSGPRsForWavesPerEU: 36
; NumVGPRsForWavesPerEU: 51
; Occupancy: 16
; WaveLimiterHint : 1
; COMPUTE_PGM_RSRC2:SCRATCH_EN: 1
; COMPUTE_PGM_RSRC2:USER_SGPR: 15
; COMPUTE_PGM_RSRC2:TRAP_HANDLER: 0
; COMPUTE_PGM_RSRC2:TGID_X_EN: 1
; COMPUTE_PGM_RSRC2:TGID_Y_EN: 0
; COMPUTE_PGM_RSRC2:TGID_Z_EN: 0
; COMPUTE_PGM_RSRC2:TIDIG_COMP_CNT: 0
	.section	.text._ZN4vllm18act_and_mul_kernelIN3c108BFloat16E15__hip_bfloat162TnPFT_RKS4_EXadL_ZNS_16gelu_tanh_kernelIS2_EES4_S6_EETnPFT0_RKSA_EXadL_ZNS_23packed_gelu_tanh_kernelIS3_EES4_S6_EELb1ELb1ELb0ELb1EEEvPS4_PS5_if,"axG",@progbits,_ZN4vllm18act_and_mul_kernelIN3c108BFloat16E15__hip_bfloat162TnPFT_RKS4_EXadL_ZNS_16gelu_tanh_kernelIS2_EES4_S6_EETnPFT0_RKSA_EXadL_ZNS_23packed_gelu_tanh_kernelIS3_EES4_S6_EELb1ELb1ELb0ELb1EEEvPS4_PS5_if,comdat
	.protected	_ZN4vllm18act_and_mul_kernelIN3c108BFloat16E15__hip_bfloat162TnPFT_RKS4_EXadL_ZNS_16gelu_tanh_kernelIS2_EES4_S6_EETnPFT0_RKSA_EXadL_ZNS_23packed_gelu_tanh_kernelIS3_EES4_S6_EELb1ELb1ELb0ELb1EEEvPS4_PS5_if ; -- Begin function _ZN4vllm18act_and_mul_kernelIN3c108BFloat16E15__hip_bfloat162TnPFT_RKS4_EXadL_ZNS_16gelu_tanh_kernelIS2_EES4_S6_EETnPFT0_RKSA_EXadL_ZNS_23packed_gelu_tanh_kernelIS3_EES4_S6_EELb1ELb1ELb0ELb1EEEvPS4_PS5_if
	.globl	_ZN4vllm18act_and_mul_kernelIN3c108BFloat16E15__hip_bfloat162TnPFT_RKS4_EXadL_ZNS_16gelu_tanh_kernelIS2_EES4_S6_EETnPFT0_RKSA_EXadL_ZNS_23packed_gelu_tanh_kernelIS3_EES4_S6_EELb1ELb1ELb0ELb1EEEvPS4_PS5_if
	.p2align	8
	.type	_ZN4vllm18act_and_mul_kernelIN3c108BFloat16E15__hip_bfloat162TnPFT_RKS4_EXadL_ZNS_16gelu_tanh_kernelIS2_EES4_S6_EETnPFT0_RKSA_EXadL_ZNS_23packed_gelu_tanh_kernelIS3_EES4_S6_EELb1ELb1ELb0ELb1EEEvPS4_PS5_if,@function
_ZN4vllm18act_and_mul_kernelIN3c108BFloat16E15__hip_bfloat162TnPFT_RKS4_EXadL_ZNS_16gelu_tanh_kernelIS2_EES4_S6_EETnPFT0_RKSA_EXadL_ZNS_23packed_gelu_tanh_kernelIS3_EES4_S6_EELb1ELb1ELb0ELb1EEEvPS4_PS5_if: ; @_ZN4vllm18act_and_mul_kernelIN3c108BFloat16E15__hip_bfloat162TnPFT_RKS4_EXadL_ZNS_16gelu_tanh_kernelIS2_EES4_S6_EETnPFT0_RKSA_EXadL_ZNS_23packed_gelu_tanh_kernelIS3_EES4_S6_EELb1ELb1ELb0ELb1EEEvPS4_PS5_if
; %bb.0:
	s_load_b32 s2, s[0:1], 0x10
	s_mov_b32 s32, 0
	s_waitcnt lgkmcnt(0)
	s_ashr_i32 s3, s2, 31
	s_delay_alu instid0(SALU_CYCLE_1) | instskip(NEXT) | instid1(SALU_CYCLE_1)
	s_lshr_b32 s3, s3, 28
	s_add_i32 s2, s2, s3
	s_delay_alu instid0(SALU_CYCLE_1) | instskip(NEXT) | instid1(SALU_CYCLE_1)
	s_ashr_i32 s2, s2, 4
	v_cmp_gt_i32_e32 vcc_lo, s2, v0
	s_and_saveexec_b32 s2, vcc_lo
	s_cbranch_execz .LBB40_2
; %bb.1:
	s_add_u32 s8, s0, 24
	s_addc_u32 s9, s1, 0
	s_getpc_b64 s[0:1]
	s_add_u32 s0, s0, .str@rel32@lo+4
	s_addc_u32 s1, s1, .str@rel32@hi+12
	s_getpc_b64 s[2:3]
	s_add_u32 s2, s2, __PRETTY_FUNCTION__._ZN4vllm5ld256ERNS_7u32x8_tEPKS0_@rel32@lo+4
	s_addc_u32 s3, s3, __PRETTY_FUNCTION__._ZN4vllm5ld256ERNS_7u32x8_tEPKS0_@rel32@hi+12
	v_dual_mov_b32 v0, s0 :: v_dual_mov_b32 v1, s1
	v_dual_mov_b32 v2, 0x93 :: v_dual_mov_b32 v3, s2
	v_mov_b32_e32 v4, s3
	s_getpc_b64 s[4:5]
	s_add_u32 s4, s4, __assert_fail@rel32@lo+4
	s_addc_u32 s5, s5, __assert_fail@rel32@hi+12
	s_delay_alu instid0(SALU_CYCLE_1)
	s_swappc_b64 s[30:31], s[4:5]
	; divergent unreachable
.LBB40_2:
	s_endpgm
	.section	.rodata,"a",@progbits
	.p2align	6, 0x0
	.amdhsa_kernel _ZN4vllm18act_and_mul_kernelIN3c108BFloat16E15__hip_bfloat162TnPFT_RKS4_EXadL_ZNS_16gelu_tanh_kernelIS2_EES4_S6_EETnPFT0_RKSA_EXadL_ZNS_23packed_gelu_tanh_kernelIS3_EES4_S6_EELb1ELb1ELb0ELb1EEEvPS4_PS5_if
		.amdhsa_group_segment_fixed_size 0
		.amdhsa_private_segment_fixed_size 64
		.amdhsa_kernarg_size 280
		.amdhsa_user_sgpr_count 15
		.amdhsa_user_sgpr_dispatch_ptr 0
		.amdhsa_user_sgpr_queue_ptr 0
		.amdhsa_user_sgpr_kernarg_segment_ptr 1
		.amdhsa_user_sgpr_dispatch_id 0
		.amdhsa_user_sgpr_private_segment_size 0
		.amdhsa_wavefront_size32 1
		.amdhsa_uses_dynamic_stack 0
		.amdhsa_enable_private_segment 1
		.amdhsa_system_sgpr_workgroup_id_x 1
		.amdhsa_system_sgpr_workgroup_id_y 0
		.amdhsa_system_sgpr_workgroup_id_z 0
		.amdhsa_system_sgpr_workgroup_info 0
		.amdhsa_system_vgpr_workitem_id 0
		.amdhsa_next_free_vgpr 51
		.amdhsa_next_free_sgpr 34
		.amdhsa_reserve_vcc 1
		.amdhsa_float_round_mode_32 0
		.amdhsa_float_round_mode_16_64 0
		.amdhsa_float_denorm_mode_32 3
		.amdhsa_float_denorm_mode_16_64 3
		.amdhsa_dx10_clamp 1
		.amdhsa_ieee_mode 1
		.amdhsa_fp16_overflow 0
		.amdhsa_workgroup_processor_mode 1
		.amdhsa_memory_ordered 1
		.amdhsa_forward_progress 0
		.amdhsa_shared_vgpr_count 0
		.amdhsa_exception_fp_ieee_invalid_op 0
		.amdhsa_exception_fp_denorm_src 0
		.amdhsa_exception_fp_ieee_div_zero 0
		.amdhsa_exception_fp_ieee_overflow 0
		.amdhsa_exception_fp_ieee_underflow 0
		.amdhsa_exception_fp_ieee_inexact 0
		.amdhsa_exception_int_div_zero 0
	.end_amdhsa_kernel
	.section	.text._ZN4vllm18act_and_mul_kernelIN3c108BFloat16E15__hip_bfloat162TnPFT_RKS4_EXadL_ZNS_16gelu_tanh_kernelIS2_EES4_S6_EETnPFT0_RKSA_EXadL_ZNS_23packed_gelu_tanh_kernelIS3_EES4_S6_EELb1ELb1ELb0ELb1EEEvPS4_PS5_if,"axG",@progbits,_ZN4vllm18act_and_mul_kernelIN3c108BFloat16E15__hip_bfloat162TnPFT_RKS4_EXadL_ZNS_16gelu_tanh_kernelIS2_EES4_S6_EETnPFT0_RKSA_EXadL_ZNS_23packed_gelu_tanh_kernelIS3_EES4_S6_EELb1ELb1ELb0ELb1EEEvPS4_PS5_if,comdat
.Lfunc_end40:
	.size	_ZN4vllm18act_and_mul_kernelIN3c108BFloat16E15__hip_bfloat162TnPFT_RKS4_EXadL_ZNS_16gelu_tanh_kernelIS2_EES4_S6_EETnPFT0_RKSA_EXadL_ZNS_23packed_gelu_tanh_kernelIS3_EES4_S6_EELb1ELb1ELb0ELb1EEEvPS4_PS5_if, .Lfunc_end40-_ZN4vllm18act_and_mul_kernelIN3c108BFloat16E15__hip_bfloat162TnPFT_RKS4_EXadL_ZNS_16gelu_tanh_kernelIS2_EES4_S6_EETnPFT0_RKSA_EXadL_ZNS_23packed_gelu_tanh_kernelIS3_EES4_S6_EELb1ELb1ELb0ELb1EEEvPS4_PS5_if
                                        ; -- End function
	.section	.AMDGPU.csdata,"",@progbits
; Kernel info:
; codeLenInByte = 156
; NumSgprs: 36
; NumVgprs: 51
; ScratchSize: 64
; MemoryBound: 0
; FloatMode: 240
; IeeeMode: 1
; LDSByteSize: 0 bytes/workgroup (compile time only)
; SGPRBlocks: 4
; VGPRBlocks: 6
; NumSGPRsForWavesPerEU: 36
; NumVGPRsForWavesPerEU: 51
; Occupancy: 16
; WaveLimiterHint : 1
; COMPUTE_PGM_RSRC2:SCRATCH_EN: 1
; COMPUTE_PGM_RSRC2:USER_SGPR: 15
; COMPUTE_PGM_RSRC2:TRAP_HANDLER: 0
; COMPUTE_PGM_RSRC2:TGID_X_EN: 1
; COMPUTE_PGM_RSRC2:TGID_Y_EN: 0
; COMPUTE_PGM_RSRC2:TGID_Z_EN: 0
; COMPUTE_PGM_RSRC2:TIDIG_COMP_CNT: 0
	.section	.text._ZN4vllm18act_and_mul_kernelIf15HIP_vector_typeIfLj2EETnPFT_RKS3_EXadL_ZNS_16gelu_tanh_kernelIfEES3_S5_EETnPFT0_RKS9_EXadL_ZNS_23packed_gelu_tanh_kernelIS2_EES3_S5_EELb1ELb1ELb0ELb0EEEvPS3_PS4_if,"axG",@progbits,_ZN4vllm18act_and_mul_kernelIf15HIP_vector_typeIfLj2EETnPFT_RKS3_EXadL_ZNS_16gelu_tanh_kernelIfEES3_S5_EETnPFT0_RKS9_EXadL_ZNS_23packed_gelu_tanh_kernelIS2_EES3_S5_EELb1ELb1ELb0ELb0EEEvPS3_PS4_if,comdat
	.protected	_ZN4vllm18act_and_mul_kernelIf15HIP_vector_typeIfLj2EETnPFT_RKS3_EXadL_ZNS_16gelu_tanh_kernelIfEES3_S5_EETnPFT0_RKS9_EXadL_ZNS_23packed_gelu_tanh_kernelIS2_EES3_S5_EELb1ELb1ELb0ELb0EEEvPS3_PS4_if ; -- Begin function _ZN4vllm18act_and_mul_kernelIf15HIP_vector_typeIfLj2EETnPFT_RKS3_EXadL_ZNS_16gelu_tanh_kernelIfEES3_S5_EETnPFT0_RKS9_EXadL_ZNS_23packed_gelu_tanh_kernelIS2_EES3_S5_EELb1ELb1ELb0ELb0EEEvPS3_PS4_if
	.globl	_ZN4vllm18act_and_mul_kernelIf15HIP_vector_typeIfLj2EETnPFT_RKS3_EXadL_ZNS_16gelu_tanh_kernelIfEES3_S5_EETnPFT0_RKS9_EXadL_ZNS_23packed_gelu_tanh_kernelIS2_EES3_S5_EELb1ELb1ELb0ELb0EEEvPS3_PS4_if
	.p2align	8
	.type	_ZN4vllm18act_and_mul_kernelIf15HIP_vector_typeIfLj2EETnPFT_RKS3_EXadL_ZNS_16gelu_tanh_kernelIfEES3_S5_EETnPFT0_RKS9_EXadL_ZNS_23packed_gelu_tanh_kernelIS2_EES3_S5_EELb1ELb1ELb0ELb0EEEvPS3_PS4_if,@function
_ZN4vllm18act_and_mul_kernelIf15HIP_vector_typeIfLj2EETnPFT_RKS3_EXadL_ZNS_16gelu_tanh_kernelIfEES3_S5_EETnPFT0_RKS9_EXadL_ZNS_23packed_gelu_tanh_kernelIS2_EES3_S5_EELb1ELb1ELb0ELb0EEEvPS3_PS4_if: ; @_ZN4vllm18act_and_mul_kernelIf15HIP_vector_typeIfLj2EETnPFT_RKS3_EXadL_ZNS_16gelu_tanh_kernelIfEES3_S5_EETnPFT0_RKS9_EXadL_ZNS_23packed_gelu_tanh_kernelIS2_EES3_S5_EELb1ELb1ELb0ELb0EEEvPS3_PS4_if
; %bb.0:
	s_load_b32 s2, s[0:1], 0x10
	s_mov_b32 s5, exec_lo
	s_waitcnt lgkmcnt(0)
	s_ashr_i32 s3, s2, 31
	s_delay_alu instid0(SALU_CYCLE_1) | instskip(NEXT) | instid1(SALU_CYCLE_1)
	s_lshr_b32 s4, s3, 30
	s_add_i32 s4, s2, s4
	s_delay_alu instid0(SALU_CYCLE_1) | instskip(NEXT) | instid1(SALU_CYCLE_1)
	s_ashr_i32 s4, s4, 2
	v_cmpx_gt_i32_e64 s4, v0
	s_cbranch_execz .LBB41_19
; %bb.1:
	s_clause 0x1
	s_load_b32 s5, s[0:1], 0x24
	s_load_b128 s[8:11], s[0:1], 0x0
	s_mul_i32 s12, s15, s2
	s_mov_b32 s1, 0
	s_lshl_b32 s0, s12, 1
	v_lshlrev_b32_e32 v1, 4, v0
	s_lshl_b64 s[6:7], s[0:1], 2
	s_mov_b32 s13, s1
	s_waitcnt lgkmcnt(0)
	s_and_b32 s5, s5, 0xffff
	s_add_u32 s0, s10, s6
	s_addc_u32 s7, s11, s7
	v_add_co_u32 v9, s0, s0, v1
	s_lshl_b64 s[10:11], s[12:13], 2
	s_lshl_b32 s6, s5, 4
	s_lshl_b64 s[2:3], s[2:3], 2
	v_add_co_ci_u32_e64 v10, null, s7, 0, s0
	s_add_u32 s0, s8, s10
	s_addc_u32 s7, s9, s11
	v_add_co_u32 v11, vcc_lo, v9, s2
	v_add_co_u32 v13, s0, s0, v1
	v_add_co_ci_u32_e32 v12, vcc_lo, s3, v10, vcc_lo
	v_add_co_ci_u32_e64 v14, null, s7, 0, s0
	s_mov_b64 s[2:3], 0
	s_mov_b32 s7, 0xbbbac73d
	s_branch .LBB41_3
.LBB41_2:                               ;   in Loop: Header=BB41_3 Depth=1
	s_or_b32 exec_lo, exec_lo, s0
	v_bfi_b32 v15, 0x7fffffff, v16, v15
	v_bfi_b32 v16, 0x7fffffff, v18, v17
	;; [unrolled: 1-line block ×3, first 2 shown]
	s_waitcnt_depctr 0xfff
	v_bfi_b32 v18, 0x7fffffff, v22, v21
	v_dual_mul_f32 v6, 0.5, v6 :: v_dual_mul_f32 v5, 0.5, v5
	v_dual_add_f32 v15, 1.0, v15 :: v_dual_add_f32 v16, 1.0, v16
	v_dual_mul_f32 v8, 0.5, v8 :: v_dual_mul_f32 v7, 0.5, v7
	s_delay_alu instid0(VALU_DEP_4) | instskip(NEXT) | instid1(VALU_DEP_3)
	v_dual_add_f32 v17, 1.0, v17 :: v_dual_add_f32 v18, 1.0, v18
	v_dual_mul_f32 v5, v5, v15 :: v_dual_mul_f32 v6, v6, v16
	s_delay_alu instid0(VALU_DEP_2) | instskip(SKIP_1) | instid1(VALU_DEP_2)
	v_dual_mul_f32 v7, v7, v17 :: v_dual_add_nc_u32 v0, s5, v0
	s_waitcnt vmcnt(0)
	v_dual_mul_f32 v8, v8, v18 :: v_dual_mul_f32 v1, v5, v1
	v_add_co_u32 v5, s0, v13, s2
	s_delay_alu instid0(VALU_DEP_3) | instskip(SKIP_1) | instid1(VALU_DEP_4)
	v_cmp_le_i32_e32 vcc_lo, s4, v0
	v_dual_mul_f32 v2, v6, v2 :: v_dual_mul_f32 v3, v7, v3
	v_mul_f32_e32 v4, v8, v4
	v_add_co_ci_u32_e64 v6, s0, s3, v14, s0
	s_add_u32 s2, s2, s6
	s_addc_u32 s3, s3, 0
	s_or_b32 s1, vcc_lo, s1
	global_store_b128 v[5:6], v[1:4], off
	s_and_not1_b32 exec_lo, exec_lo, s1
	s_cbranch_execz .LBB41_19
.LBB41_3:                               ; =>This Inner Loop Header: Depth=1
	v_add_co_u32 v1, vcc_lo, v9, s2
	v_add_co_ci_u32_e32 v2, vcc_lo, s3, v10, vcc_lo
                                        ; implicit-def: $vgpr16
	global_load_b128 v[5:8], v[1:2], off
	v_add_co_u32 v1, vcc_lo, v11, s2
	v_add_co_ci_u32_e32 v2, vcc_lo, s3, v12, vcc_lo
	global_load_b128 v[1:4], v[1:2], off
	s_waitcnt vmcnt(1)
	v_mul_f32_e32 v15, v5, v5
	s_delay_alu instid0(VALU_DEP_1) | instskip(NEXT) | instid1(VALU_DEP_1)
	v_mul_f32_e32 v15, v15, v5
	v_fmamk_f32 v15, v15, 0x3d372713, v5
	s_delay_alu instid0(VALU_DEP_1) | instskip(NEXT) | instid1(VALU_DEP_1)
	v_mul_f32_e32 v15, 0x3f4c422a, v15
	v_cmp_ngt_f32_e64 s0, 0x3f200000, |v15|
	s_delay_alu instid0(VALU_DEP_1) | instskip(NEXT) | instid1(SALU_CYCLE_1)
	s_and_saveexec_b32 s8, s0
	s_xor_b32 s0, exec_lo, s8
	s_cbranch_execz .LBB41_5
; %bb.4:                                ;   in Loop: Header=BB41_3 Depth=1
	v_add_f32_e64 v16, |v15|, |v15|
	s_delay_alu instid0(VALU_DEP_1) | instskip(SKIP_1) | instid1(VALU_DEP_2)
	v_mul_f32_e32 v17, 0x3fb8aa3b, v16
	v_cmp_ngt_f32_e32 vcc_lo, 0xc2ce8ed0, v16
	v_rndne_f32_e32 v18, v17
	v_fma_f32 v19, 0x3fb8aa3b, v16, -v17
	s_delay_alu instid0(VALU_DEP_2) | instskip(NEXT) | instid1(VALU_DEP_2)
	v_sub_f32_e32 v17, v17, v18
	v_fmac_f32_e32 v19, 0x32a5705f, v16
	v_cvt_i32_f32_e32 v18, v18
	s_delay_alu instid0(VALU_DEP_2) | instskip(NEXT) | instid1(VALU_DEP_1)
	v_add_f32_e32 v17, v17, v19
	v_exp_f32_e32 v17, v17
	s_waitcnt_depctr 0xfff
	v_ldexp_f32 v17, v17, v18
	s_delay_alu instid0(VALU_DEP_1) | instskip(SKIP_1) | instid1(VALU_DEP_2)
	v_cndmask_b32_e32 v17, 0, v17, vcc_lo
	v_cmp_nlt_f32_e32 vcc_lo, 0x42b17218, v16
	v_cndmask_b32_e32 v16, 0x7f800000, v17, vcc_lo
	s_delay_alu instid0(VALU_DEP_1) | instskip(NEXT) | instid1(VALU_DEP_1)
	v_add_f32_e32 v16, 1.0, v16
	v_rcp_f32_e32 v16, v16
	s_waitcnt_depctr 0xfff
	v_fma_f32 v16, v16, -2.0, 1.0
.LBB41_5:                               ;   in Loop: Header=BB41_3 Depth=1
	s_and_not1_saveexec_b32 s0, s0
; %bb.6:                                ;   in Loop: Header=BB41_3 Depth=1
	v_mul_f32_e32 v16, v15, v15
	s_delay_alu instid0(VALU_DEP_1) | instskip(NEXT) | instid1(VALU_DEP_1)
	v_fmaak_f32 v17, s7, v16, 0x3ca908c9
	v_fmaak_f32 v17, v16, v17, 0xbd5c1c4e
	s_delay_alu instid0(VALU_DEP_1) | instskip(NEXT) | instid1(VALU_DEP_1)
	v_fmaak_f32 v17, v16, v17, 0x3e088382
	v_fmaak_f32 v17, v16, v17, 0xbeaaaa99
	s_delay_alu instid0(VALU_DEP_1) | instskip(NEXT) | instid1(VALU_DEP_1)
	v_mul_f32_e64 v17, |v15|, v17
	v_fma_f32 v16, v16, v17, |v15|
; %bb.7:                                ;   in Loop: Header=BB41_3 Depth=1
	s_or_b32 exec_lo, exec_lo, s0
	v_mul_f32_e32 v17, v6, v6
                                        ; implicit-def: $vgpr18
	s_delay_alu instid0(VALU_DEP_1) | instskip(NEXT) | instid1(VALU_DEP_1)
	v_mul_f32_e32 v17, v17, v6
	v_fmamk_f32 v17, v17, 0x3d372713, v6
	s_delay_alu instid0(VALU_DEP_1) | instskip(NEXT) | instid1(VALU_DEP_1)
	v_mul_f32_e32 v17, 0x3f4c422a, v17
	v_cmp_ngt_f32_e64 s0, 0x3f200000, |v17|
	s_delay_alu instid0(VALU_DEP_1) | instskip(NEXT) | instid1(SALU_CYCLE_1)
	s_and_saveexec_b32 s8, s0
	s_xor_b32 s0, exec_lo, s8
	s_cbranch_execz .LBB41_9
; %bb.8:                                ;   in Loop: Header=BB41_3 Depth=1
	v_add_f32_e64 v18, |v17|, |v17|
	s_delay_alu instid0(VALU_DEP_1) | instskip(SKIP_1) | instid1(VALU_DEP_2)
	v_mul_f32_e32 v19, 0x3fb8aa3b, v18
	v_cmp_ngt_f32_e32 vcc_lo, 0xc2ce8ed0, v18
	v_rndne_f32_e32 v20, v19
	v_fma_f32 v21, 0x3fb8aa3b, v18, -v19
	s_delay_alu instid0(VALU_DEP_2) | instskip(NEXT) | instid1(VALU_DEP_2)
	v_sub_f32_e32 v19, v19, v20
	v_fmac_f32_e32 v21, 0x32a5705f, v18
	v_cvt_i32_f32_e32 v20, v20
	s_delay_alu instid0(VALU_DEP_2) | instskip(NEXT) | instid1(VALU_DEP_1)
	v_add_f32_e32 v19, v19, v21
	v_exp_f32_e32 v19, v19
	s_waitcnt_depctr 0xfff
	v_ldexp_f32 v19, v19, v20
	s_delay_alu instid0(VALU_DEP_1) | instskip(SKIP_1) | instid1(VALU_DEP_2)
	v_cndmask_b32_e32 v19, 0, v19, vcc_lo
	v_cmp_nlt_f32_e32 vcc_lo, 0x42b17218, v18
	v_cndmask_b32_e32 v18, 0x7f800000, v19, vcc_lo
	s_delay_alu instid0(VALU_DEP_1) | instskip(NEXT) | instid1(VALU_DEP_1)
	v_add_f32_e32 v18, 1.0, v18
	v_rcp_f32_e32 v18, v18
	s_waitcnt_depctr 0xfff
	v_fma_f32 v18, v18, -2.0, 1.0
.LBB41_9:                               ;   in Loop: Header=BB41_3 Depth=1
	s_and_not1_saveexec_b32 s0, s0
; %bb.10:                               ;   in Loop: Header=BB41_3 Depth=1
	v_mul_f32_e32 v18, v17, v17
	s_delay_alu instid0(VALU_DEP_1) | instskip(NEXT) | instid1(VALU_DEP_1)
	v_fmaak_f32 v19, s7, v18, 0x3ca908c9
	v_fmaak_f32 v19, v18, v19, 0xbd5c1c4e
	s_delay_alu instid0(VALU_DEP_1) | instskip(NEXT) | instid1(VALU_DEP_1)
	v_fmaak_f32 v19, v18, v19, 0x3e088382
	v_fmaak_f32 v19, v18, v19, 0xbeaaaa99
	s_delay_alu instid0(VALU_DEP_1) | instskip(NEXT) | instid1(VALU_DEP_1)
	v_mul_f32_e64 v19, |v17|, v19
	v_fma_f32 v18, v18, v19, |v17|
; %bb.11:                               ;   in Loop: Header=BB41_3 Depth=1
	s_or_b32 exec_lo, exec_lo, s0
	v_mul_f32_e32 v19, v7, v7
                                        ; implicit-def: $vgpr20
	s_delay_alu instid0(VALU_DEP_1) | instskip(NEXT) | instid1(VALU_DEP_1)
	v_mul_f32_e32 v19, v19, v7
	v_fmamk_f32 v19, v19, 0x3d372713, v7
	s_delay_alu instid0(VALU_DEP_1) | instskip(NEXT) | instid1(VALU_DEP_1)
	v_mul_f32_e32 v19, 0x3f4c422a, v19
	v_cmp_ngt_f32_e64 s0, 0x3f200000, |v19|
	s_delay_alu instid0(VALU_DEP_1) | instskip(NEXT) | instid1(SALU_CYCLE_1)
	s_and_saveexec_b32 s8, s0
	s_xor_b32 s0, exec_lo, s8
	s_cbranch_execz .LBB41_13
; %bb.12:                               ;   in Loop: Header=BB41_3 Depth=1
	v_add_f32_e64 v20, |v19|, |v19|
	s_delay_alu instid0(VALU_DEP_1) | instskip(SKIP_1) | instid1(VALU_DEP_2)
	v_mul_f32_e32 v21, 0x3fb8aa3b, v20
	v_cmp_ngt_f32_e32 vcc_lo, 0xc2ce8ed0, v20
	v_rndne_f32_e32 v22, v21
	v_fma_f32 v23, 0x3fb8aa3b, v20, -v21
	s_delay_alu instid0(VALU_DEP_2) | instskip(NEXT) | instid1(VALU_DEP_2)
	v_sub_f32_e32 v21, v21, v22
	v_fmac_f32_e32 v23, 0x32a5705f, v20
	v_cvt_i32_f32_e32 v22, v22
	s_delay_alu instid0(VALU_DEP_2) | instskip(NEXT) | instid1(VALU_DEP_1)
	v_add_f32_e32 v21, v21, v23
	v_exp_f32_e32 v21, v21
	s_waitcnt_depctr 0xfff
	v_ldexp_f32 v21, v21, v22
	s_delay_alu instid0(VALU_DEP_1) | instskip(SKIP_1) | instid1(VALU_DEP_2)
	v_cndmask_b32_e32 v21, 0, v21, vcc_lo
	v_cmp_nlt_f32_e32 vcc_lo, 0x42b17218, v20
	v_cndmask_b32_e32 v20, 0x7f800000, v21, vcc_lo
	s_delay_alu instid0(VALU_DEP_1) | instskip(NEXT) | instid1(VALU_DEP_1)
	v_add_f32_e32 v20, 1.0, v20
	v_rcp_f32_e32 v20, v20
	s_waitcnt_depctr 0xfff
	v_fma_f32 v20, v20, -2.0, 1.0
.LBB41_13:                              ;   in Loop: Header=BB41_3 Depth=1
	s_and_not1_saveexec_b32 s0, s0
; %bb.14:                               ;   in Loop: Header=BB41_3 Depth=1
	v_mul_f32_e32 v20, v19, v19
	s_delay_alu instid0(VALU_DEP_1) | instskip(NEXT) | instid1(VALU_DEP_1)
	v_fmaak_f32 v21, s7, v20, 0x3ca908c9
	v_fmaak_f32 v21, v20, v21, 0xbd5c1c4e
	s_delay_alu instid0(VALU_DEP_1) | instskip(NEXT) | instid1(VALU_DEP_1)
	v_fmaak_f32 v21, v20, v21, 0x3e088382
	v_fmaak_f32 v21, v20, v21, 0xbeaaaa99
	s_delay_alu instid0(VALU_DEP_1) | instskip(NEXT) | instid1(VALU_DEP_1)
	v_mul_f32_e64 v21, |v19|, v21
	v_fma_f32 v20, v20, v21, |v19|
; %bb.15:                               ;   in Loop: Header=BB41_3 Depth=1
	s_or_b32 exec_lo, exec_lo, s0
	v_mul_f32_e32 v21, v8, v8
                                        ; implicit-def: $vgpr22
	s_delay_alu instid0(VALU_DEP_1) | instskip(NEXT) | instid1(VALU_DEP_1)
	v_mul_f32_e32 v21, v21, v8
	v_fmamk_f32 v21, v21, 0x3d372713, v8
	s_delay_alu instid0(VALU_DEP_1) | instskip(NEXT) | instid1(VALU_DEP_1)
	v_mul_f32_e32 v21, 0x3f4c422a, v21
	v_cmp_ngt_f32_e64 s0, 0x3f200000, |v21|
	s_delay_alu instid0(VALU_DEP_1) | instskip(NEXT) | instid1(SALU_CYCLE_1)
	s_and_saveexec_b32 s8, s0
	s_xor_b32 s0, exec_lo, s8
	s_cbranch_execz .LBB41_17
; %bb.16:                               ;   in Loop: Header=BB41_3 Depth=1
	v_add_f32_e64 v22, |v21|, |v21|
	s_delay_alu instid0(VALU_DEP_1) | instskip(SKIP_1) | instid1(VALU_DEP_2)
	v_mul_f32_e32 v23, 0x3fb8aa3b, v22
	v_cmp_ngt_f32_e32 vcc_lo, 0xc2ce8ed0, v22
	v_rndne_f32_e32 v24, v23
	v_fma_f32 v25, 0x3fb8aa3b, v22, -v23
	s_delay_alu instid0(VALU_DEP_2) | instskip(NEXT) | instid1(VALU_DEP_2)
	v_sub_f32_e32 v23, v23, v24
	v_fmac_f32_e32 v25, 0x32a5705f, v22
	v_cvt_i32_f32_e32 v24, v24
	s_delay_alu instid0(VALU_DEP_2) | instskip(NEXT) | instid1(VALU_DEP_1)
	v_add_f32_e32 v23, v23, v25
	v_exp_f32_e32 v23, v23
	s_waitcnt_depctr 0xfff
	v_ldexp_f32 v23, v23, v24
	s_delay_alu instid0(VALU_DEP_1) | instskip(SKIP_1) | instid1(VALU_DEP_2)
	v_cndmask_b32_e32 v23, 0, v23, vcc_lo
	v_cmp_nlt_f32_e32 vcc_lo, 0x42b17218, v22
	v_cndmask_b32_e32 v22, 0x7f800000, v23, vcc_lo
	s_delay_alu instid0(VALU_DEP_1) | instskip(NEXT) | instid1(VALU_DEP_1)
	v_add_f32_e32 v22, 1.0, v22
	v_rcp_f32_e32 v22, v22
	s_waitcnt_depctr 0xfff
	v_fma_f32 v22, v22, -2.0, 1.0
.LBB41_17:                              ;   in Loop: Header=BB41_3 Depth=1
	s_and_not1_saveexec_b32 s0, s0
	s_cbranch_execz .LBB41_2
; %bb.18:                               ;   in Loop: Header=BB41_3 Depth=1
	v_mul_f32_e32 v22, v21, v21
	s_delay_alu instid0(VALU_DEP_1) | instskip(NEXT) | instid1(VALU_DEP_1)
	v_fmaak_f32 v23, s7, v22, 0x3ca908c9
	v_fmaak_f32 v23, v22, v23, 0xbd5c1c4e
	s_delay_alu instid0(VALU_DEP_1) | instskip(NEXT) | instid1(VALU_DEP_1)
	v_fmaak_f32 v23, v22, v23, 0x3e088382
	v_fmaak_f32 v23, v22, v23, 0xbeaaaa99
	s_delay_alu instid0(VALU_DEP_1) | instskip(NEXT) | instid1(VALU_DEP_1)
	v_mul_f32_e64 v23, |v21|, v23
	v_fma_f32 v22, v22, v23, |v21|
	s_branch .LBB41_2
.LBB41_19:
	s_nop 0
	s_sendmsg sendmsg(MSG_DEALLOC_VGPRS)
	s_endpgm
	.section	.rodata,"a",@progbits
	.p2align	6, 0x0
	.amdhsa_kernel _ZN4vllm18act_and_mul_kernelIf15HIP_vector_typeIfLj2EETnPFT_RKS3_EXadL_ZNS_16gelu_tanh_kernelIfEES3_S5_EETnPFT0_RKS9_EXadL_ZNS_23packed_gelu_tanh_kernelIS2_EES3_S5_EELb1ELb1ELb0ELb0EEEvPS3_PS4_if
		.amdhsa_group_segment_fixed_size 0
		.amdhsa_private_segment_fixed_size 0
		.amdhsa_kernarg_size 280
		.amdhsa_user_sgpr_count 15
		.amdhsa_user_sgpr_dispatch_ptr 0
		.amdhsa_user_sgpr_queue_ptr 0
		.amdhsa_user_sgpr_kernarg_segment_ptr 1
		.amdhsa_user_sgpr_dispatch_id 0
		.amdhsa_user_sgpr_private_segment_size 0
		.amdhsa_wavefront_size32 1
		.amdhsa_uses_dynamic_stack 0
		.amdhsa_enable_private_segment 0
		.amdhsa_system_sgpr_workgroup_id_x 1
		.amdhsa_system_sgpr_workgroup_id_y 0
		.amdhsa_system_sgpr_workgroup_id_z 0
		.amdhsa_system_sgpr_workgroup_info 0
		.amdhsa_system_vgpr_workitem_id 0
		.amdhsa_next_free_vgpr 26
		.amdhsa_next_free_sgpr 16
		.amdhsa_reserve_vcc 1
		.amdhsa_float_round_mode_32 0
		.amdhsa_float_round_mode_16_64 0
		.amdhsa_float_denorm_mode_32 3
		.amdhsa_float_denorm_mode_16_64 3
		.amdhsa_dx10_clamp 1
		.amdhsa_ieee_mode 1
		.amdhsa_fp16_overflow 0
		.amdhsa_workgroup_processor_mode 1
		.amdhsa_memory_ordered 1
		.amdhsa_forward_progress 0
		.amdhsa_shared_vgpr_count 0
		.amdhsa_exception_fp_ieee_invalid_op 0
		.amdhsa_exception_fp_denorm_src 0
		.amdhsa_exception_fp_ieee_div_zero 0
		.amdhsa_exception_fp_ieee_overflow 0
		.amdhsa_exception_fp_ieee_underflow 0
		.amdhsa_exception_fp_ieee_inexact 0
		.amdhsa_exception_int_div_zero 0
	.end_amdhsa_kernel
	.section	.text._ZN4vllm18act_and_mul_kernelIf15HIP_vector_typeIfLj2EETnPFT_RKS3_EXadL_ZNS_16gelu_tanh_kernelIfEES3_S5_EETnPFT0_RKS9_EXadL_ZNS_23packed_gelu_tanh_kernelIS2_EES3_S5_EELb1ELb1ELb0ELb0EEEvPS3_PS4_if,"axG",@progbits,_ZN4vllm18act_and_mul_kernelIf15HIP_vector_typeIfLj2EETnPFT_RKS3_EXadL_ZNS_16gelu_tanh_kernelIfEES3_S5_EETnPFT0_RKS9_EXadL_ZNS_23packed_gelu_tanh_kernelIS2_EES3_S5_EELb1ELb1ELb0ELb0EEEvPS3_PS4_if,comdat
.Lfunc_end41:
	.size	_ZN4vllm18act_and_mul_kernelIf15HIP_vector_typeIfLj2EETnPFT_RKS3_EXadL_ZNS_16gelu_tanh_kernelIfEES3_S5_EETnPFT0_RKS9_EXadL_ZNS_23packed_gelu_tanh_kernelIS2_EES3_S5_EELb1ELb1ELb0ELb0EEEvPS3_PS4_if, .Lfunc_end41-_ZN4vllm18act_and_mul_kernelIf15HIP_vector_typeIfLj2EETnPFT_RKS3_EXadL_ZNS_16gelu_tanh_kernelIfEES3_S5_EETnPFT0_RKS9_EXadL_ZNS_23packed_gelu_tanh_kernelIS2_EES3_S5_EELb1ELb1ELb0ELb0EEEvPS3_PS4_if
                                        ; -- End function
	.section	.AMDGPU.csdata,"",@progbits
; Kernel info:
; codeLenInByte = 1516
; NumSgprs: 18
; NumVgprs: 26
; ScratchSize: 0
; MemoryBound: 0
; FloatMode: 240
; IeeeMode: 1
; LDSByteSize: 0 bytes/workgroup (compile time only)
; SGPRBlocks: 2
; VGPRBlocks: 3
; NumSGPRsForWavesPerEU: 18
; NumVGPRsForWavesPerEU: 26
; Occupancy: 16
; WaveLimiterHint : 0
; COMPUTE_PGM_RSRC2:SCRATCH_EN: 0
; COMPUTE_PGM_RSRC2:USER_SGPR: 15
; COMPUTE_PGM_RSRC2:TRAP_HANDLER: 0
; COMPUTE_PGM_RSRC2:TGID_X_EN: 1
; COMPUTE_PGM_RSRC2:TGID_Y_EN: 0
; COMPUTE_PGM_RSRC2:TGID_Z_EN: 0
; COMPUTE_PGM_RSRC2:TIDIG_COMP_CNT: 0
	.section	.text._ZN4vllm18act_and_mul_kernelIN3c104HalfE7__half2TnPFT_RKS4_EXadL_ZNS_16gelu_tanh_kernelIS2_EES4_S6_EETnPFT0_RKSA_EXadL_ZNS_23packed_gelu_tanh_kernelIS3_EES4_S6_EELb1ELb1ELb0ELb0EEEvPS4_PS5_if,"axG",@progbits,_ZN4vllm18act_and_mul_kernelIN3c104HalfE7__half2TnPFT_RKS4_EXadL_ZNS_16gelu_tanh_kernelIS2_EES4_S6_EETnPFT0_RKSA_EXadL_ZNS_23packed_gelu_tanh_kernelIS3_EES4_S6_EELb1ELb1ELb0ELb0EEEvPS4_PS5_if,comdat
	.protected	_ZN4vllm18act_and_mul_kernelIN3c104HalfE7__half2TnPFT_RKS4_EXadL_ZNS_16gelu_tanh_kernelIS2_EES4_S6_EETnPFT0_RKSA_EXadL_ZNS_23packed_gelu_tanh_kernelIS3_EES4_S6_EELb1ELb1ELb0ELb0EEEvPS4_PS5_if ; -- Begin function _ZN4vllm18act_and_mul_kernelIN3c104HalfE7__half2TnPFT_RKS4_EXadL_ZNS_16gelu_tanh_kernelIS2_EES4_S6_EETnPFT0_RKSA_EXadL_ZNS_23packed_gelu_tanh_kernelIS3_EES4_S6_EELb1ELb1ELb0ELb0EEEvPS4_PS5_if
	.globl	_ZN4vllm18act_and_mul_kernelIN3c104HalfE7__half2TnPFT_RKS4_EXadL_ZNS_16gelu_tanh_kernelIS2_EES4_S6_EETnPFT0_RKSA_EXadL_ZNS_23packed_gelu_tanh_kernelIS3_EES4_S6_EELb1ELb1ELb0ELb0EEEvPS4_PS5_if
	.p2align	8
	.type	_ZN4vllm18act_and_mul_kernelIN3c104HalfE7__half2TnPFT_RKS4_EXadL_ZNS_16gelu_tanh_kernelIS2_EES4_S6_EETnPFT0_RKSA_EXadL_ZNS_23packed_gelu_tanh_kernelIS3_EES4_S6_EELb1ELb1ELb0ELb0EEEvPS4_PS5_if,@function
_ZN4vllm18act_and_mul_kernelIN3c104HalfE7__half2TnPFT_RKS4_EXadL_ZNS_16gelu_tanh_kernelIS2_EES4_S6_EETnPFT0_RKSA_EXadL_ZNS_23packed_gelu_tanh_kernelIS3_EES4_S6_EELb1ELb1ELb0ELb0EEEvPS4_PS5_if: ; @_ZN4vllm18act_and_mul_kernelIN3c104HalfE7__half2TnPFT_RKS4_EXadL_ZNS_16gelu_tanh_kernelIS2_EES4_S6_EETnPFT0_RKSA_EXadL_ZNS_23packed_gelu_tanh_kernelIS3_EES4_S6_EELb1ELb1ELb0ELb0EEEvPS4_PS5_if
; %bb.0:
	s_load_b32 s2, s[0:1], 0x10
	s_mov_b32 s5, exec_lo
	s_waitcnt lgkmcnt(0)
	s_ashr_i32 s3, s2, 31
	s_delay_alu instid0(SALU_CYCLE_1) | instskip(NEXT) | instid1(SALU_CYCLE_1)
	s_lshr_b32 s4, s3, 29
	s_add_i32 s4, s2, s4
	s_delay_alu instid0(SALU_CYCLE_1) | instskip(NEXT) | instid1(SALU_CYCLE_1)
	s_ashr_i32 s4, s4, 3
	v_cmpx_gt_i32_e64 s4, v0
	s_cbranch_execz .LBB42_35
; %bb.1:
	s_clause 0x1
	s_load_b32 s5, s[0:1], 0x24
	s_load_b128 s[8:11], s[0:1], 0x0
	s_mul_i32 s12, s15, s2
	s_mov_b32 s1, 0
	s_lshl_b32 s0, s12, 1
	v_lshlrev_b32_e32 v1, 4, v0
	s_lshl_b64 s[6:7], s[0:1], 1
	s_mov_b32 s13, s1
	s_waitcnt lgkmcnt(0)
	s_and_b32 s5, s5, 0xffff
	s_add_u32 s0, s10, s6
	s_addc_u32 s7, s11, s7
	v_add_co_u32 v9, s0, s0, v1
	s_lshl_b64 s[10:11], s[12:13], 1
	s_lshl_b32 s6, s5, 4
	s_lshl_b64 s[2:3], s[2:3], 1
	v_add_co_ci_u32_e64 v10, null, s7, 0, s0
	s_add_u32 s0, s8, s10
	s_addc_u32 s7, s9, s11
	v_add_co_u32 v11, vcc_lo, v9, s2
	v_add_co_u32 v13, s0, s0, v1
	v_add_co_ci_u32_e32 v12, vcc_lo, s3, v10, vcc_lo
	v_add_co_ci_u32_e64 v14, null, s7, 0, s0
	s_mov_b64 s[2:3], 0
	s_mov_b32 s7, 0x3d372713
	s_mov_b32 s8, 0xbbbac73d
	s_branch .LBB42_3
.LBB42_2:                               ;   in Loop: Header=BB42_3 Depth=1
	s_or_b32 exec_lo, exec_lo, s0
	v_bfi_b32 v16, 0x7fffffff, v17, v16
	v_mul_f32_e32 v17, 0.5, v18
	v_bfi_b32 v18, 0x7fffffff, v22, v21
	v_mul_f32_e32 v15, 0.5, v15
	v_bfi_b32 v5, 0x7fffffff, v19, v5
	v_dual_mul_f32 v19, 0.5, v20 :: v_dual_mul_f32 v6, 0.5, v6
	s_delay_alu instid0(VALU_DEP_4)
	v_add_f32_e32 v18, 1.0, v18
	v_add_f32_e32 v16, 1.0, v16
	v_bfi_b32 v20, 0x7fffffff, v24, v23
	v_bfi_b32 v22, 0x7fffffff, v32, v31
	v_add_f32_e32 v5, 1.0, v5
	v_fma_mixlo_f16 v18, v19, v18, 0
	v_bfi_b32 v19, 0x7fffffff, v27, v26
	v_fma_mixlo_f16 v15, v15, v16, 0
	v_add_f32_e32 v16, 1.0, v20
	v_dual_mul_f32 v20, 0.5, v28 :: v_dual_mul_f32 v21, 0.5, v25
	v_bfi_b32 v7, 0x7fffffff, v29, v7
	v_dual_add_f32 v19, 1.0, v19 :: v_dual_add_f32 v22, 1.0, v22
	v_dual_mul_f32 v23, 0.5, v30 :: v_dual_mul_f32 v8, 0.5, v8
	v_bfi_b32 v24, 0x7fffffff, v34, v33
	s_delay_alu instid0(VALU_DEP_4) | instskip(NEXT) | instid1(VALU_DEP_4)
	v_dual_add_f32 v7, 1.0, v7 :: v_dual_add_nc_u32 v0, s5, v0
	v_fma_mixlo_f16 v19, v21, v19, 0
	s_delay_alu instid0(VALU_DEP_4) | instskip(NEXT) | instid1(VALU_DEP_4)
	v_fma_mixlo_f16 v22, v23, v22, 0
	v_add_f32_e32 v21, 1.0, v24
	v_fma_mixhi_f16 v15, v17, v5, 0
	v_fma_mixhi_f16 v18, v6, v16, 0
	v_fma_mixhi_f16 v19, v20, v7, 0
	v_cmp_le_i32_e32 vcc_lo, s4, v0
	v_fma_mixhi_f16 v22, v8, v21, 0
	v_add_co_u32 v5, s0, v13, s2
	s_waitcnt vmcnt(0)
	v_pk_mul_f16 v1, v15, v1
	v_pk_mul_f16 v2, v18, v2
	;; [unrolled: 1-line block ×4, first 2 shown]
	v_add_co_ci_u32_e64 v6, s0, s3, v14, s0
	s_add_u32 s2, s2, s6
	s_addc_u32 s3, s3, 0
	s_or_b32 s1, vcc_lo, s1
	global_store_b128 v[5:6], v[1:4], off
	s_and_not1_b32 exec_lo, exec_lo, s1
	s_cbranch_execz .LBB42_35
.LBB42_3:                               ; =>This Inner Loop Header: Depth=1
	v_add_co_u32 v1, vcc_lo, v9, s2
	v_add_co_ci_u32_e32 v2, vcc_lo, s3, v10, vcc_lo
                                        ; implicit-def: $vgpr17
	global_load_b128 v[5:8], v[1:2], off
	v_add_co_u32 v1, vcc_lo, v11, s2
	v_add_co_ci_u32_e32 v2, vcc_lo, s3, v12, vcc_lo
	global_load_b128 v[1:4], v[1:2], off
	s_waitcnt vmcnt(1)
	v_cvt_f32_f16_e32 v15, v5
	s_delay_alu instid0(VALU_DEP_1) | instskip(NEXT) | instid1(VALU_DEP_1)
	v_mul_f32_e32 v16, v15, v15
	v_mul_f32_e32 v16, v16, v15
	s_delay_alu instid0(VALU_DEP_1) | instskip(NEXT) | instid1(VALU_DEP_1)
	v_fma_mix_f32 v16, v16, s7, v5 op_sel_hi:[0,0,1]
	v_mul_f32_e32 v16, 0x3f4c422a, v16
	s_delay_alu instid0(VALU_DEP_1) | instskip(NEXT) | instid1(VALU_DEP_1)
	v_cmp_ngt_f32_e64 s0, 0x3f200000, |v16|
	s_and_saveexec_b32 s9, s0
	s_delay_alu instid0(SALU_CYCLE_1)
	s_xor_b32 s0, exec_lo, s9
	s_cbranch_execz .LBB42_5
; %bb.4:                                ;   in Loop: Header=BB42_3 Depth=1
	v_add_f32_e64 v17, |v16|, |v16|
	s_delay_alu instid0(VALU_DEP_1) | instskip(SKIP_1) | instid1(VALU_DEP_2)
	v_mul_f32_e32 v18, 0x3fb8aa3b, v17
	v_cmp_ngt_f32_e32 vcc_lo, 0xc2ce8ed0, v17
	v_rndne_f32_e32 v19, v18
	v_fma_f32 v20, 0x3fb8aa3b, v17, -v18
	s_delay_alu instid0(VALU_DEP_2) | instskip(NEXT) | instid1(VALU_DEP_2)
	v_sub_f32_e32 v18, v18, v19
	v_fmac_f32_e32 v20, 0x32a5705f, v17
	v_cvt_i32_f32_e32 v19, v19
	s_delay_alu instid0(VALU_DEP_2) | instskip(NEXT) | instid1(VALU_DEP_1)
	v_add_f32_e32 v18, v18, v20
	v_exp_f32_e32 v18, v18
	s_waitcnt_depctr 0xfff
	v_ldexp_f32 v18, v18, v19
	s_delay_alu instid0(VALU_DEP_1) | instskip(SKIP_1) | instid1(VALU_DEP_2)
	v_cndmask_b32_e32 v18, 0, v18, vcc_lo
	v_cmp_nlt_f32_e32 vcc_lo, 0x42b17218, v17
	v_cndmask_b32_e32 v17, 0x7f800000, v18, vcc_lo
	s_delay_alu instid0(VALU_DEP_1) | instskip(NEXT) | instid1(VALU_DEP_1)
	v_add_f32_e32 v17, 1.0, v17
	v_rcp_f32_e32 v17, v17
	s_waitcnt_depctr 0xfff
	v_fma_f32 v17, v17, -2.0, 1.0
.LBB42_5:                               ;   in Loop: Header=BB42_3 Depth=1
	s_and_not1_saveexec_b32 s0, s0
; %bb.6:                                ;   in Loop: Header=BB42_3 Depth=1
	v_mul_f32_e32 v17, v16, v16
	s_delay_alu instid0(VALU_DEP_1) | instskip(NEXT) | instid1(VALU_DEP_1)
	v_fmaak_f32 v18, s8, v17, 0x3ca908c9
	v_fmaak_f32 v18, v17, v18, 0xbd5c1c4e
	s_delay_alu instid0(VALU_DEP_1) | instskip(NEXT) | instid1(VALU_DEP_1)
	v_fmaak_f32 v18, v17, v18, 0x3e088382
	v_fmaak_f32 v18, v17, v18, 0xbeaaaa99
	s_delay_alu instid0(VALU_DEP_1) | instskip(NEXT) | instid1(VALU_DEP_1)
	v_mul_f32_e64 v18, |v16|, v18
	v_fma_f32 v17, v17, v18, |v16|
; %bb.7:                                ;   in Loop: Header=BB42_3 Depth=1
	s_or_b32 exec_lo, exec_lo, s0
	v_lshrrev_b32_e32 v5, 16, v5
                                        ; implicit-def: $vgpr19
	s_delay_alu instid0(VALU_DEP_1) | instskip(NEXT) | instid1(VALU_DEP_1)
	v_cvt_f32_f16_e32 v18, v5
	v_mul_f32_e32 v5, v18, v18
	s_delay_alu instid0(VALU_DEP_1) | instskip(NEXT) | instid1(VALU_DEP_1)
	v_mul_f32_e32 v5, v5, v18
	v_fmamk_f32 v5, v5, 0x3d372713, v18
	s_delay_alu instid0(VALU_DEP_1) | instskip(NEXT) | instid1(VALU_DEP_1)
	v_mul_f32_e32 v5, 0x3f4c422a, v5
	v_cmp_ngt_f32_e64 s0, 0x3f200000, |v5|
	s_delay_alu instid0(VALU_DEP_1) | instskip(NEXT) | instid1(SALU_CYCLE_1)
	s_and_saveexec_b32 s9, s0
	s_xor_b32 s0, exec_lo, s9
	s_cbranch_execz .LBB42_9
; %bb.8:                                ;   in Loop: Header=BB42_3 Depth=1
	v_add_f32_e64 v19, |v5|, |v5|
	s_delay_alu instid0(VALU_DEP_1) | instskip(SKIP_1) | instid1(VALU_DEP_2)
	v_mul_f32_e32 v20, 0x3fb8aa3b, v19
	v_cmp_ngt_f32_e32 vcc_lo, 0xc2ce8ed0, v19
	v_rndne_f32_e32 v21, v20
	v_fma_f32 v22, 0x3fb8aa3b, v19, -v20
	s_delay_alu instid0(VALU_DEP_2) | instskip(NEXT) | instid1(VALU_DEP_2)
	v_sub_f32_e32 v20, v20, v21
	v_fmac_f32_e32 v22, 0x32a5705f, v19
	v_cvt_i32_f32_e32 v21, v21
	s_delay_alu instid0(VALU_DEP_2) | instskip(NEXT) | instid1(VALU_DEP_1)
	v_add_f32_e32 v20, v20, v22
	v_exp_f32_e32 v20, v20
	s_waitcnt_depctr 0xfff
	v_ldexp_f32 v20, v20, v21
	s_delay_alu instid0(VALU_DEP_1) | instskip(SKIP_1) | instid1(VALU_DEP_2)
	v_cndmask_b32_e32 v20, 0, v20, vcc_lo
	v_cmp_nlt_f32_e32 vcc_lo, 0x42b17218, v19
	v_cndmask_b32_e32 v19, 0x7f800000, v20, vcc_lo
	s_delay_alu instid0(VALU_DEP_1) | instskip(NEXT) | instid1(VALU_DEP_1)
	v_add_f32_e32 v19, 1.0, v19
	v_rcp_f32_e32 v19, v19
	s_waitcnt_depctr 0xfff
	v_fma_f32 v19, v19, -2.0, 1.0
.LBB42_9:                               ;   in Loop: Header=BB42_3 Depth=1
	s_and_not1_saveexec_b32 s0, s0
; %bb.10:                               ;   in Loop: Header=BB42_3 Depth=1
	v_mul_f32_e32 v19, v5, v5
	s_delay_alu instid0(VALU_DEP_1) | instskip(NEXT) | instid1(VALU_DEP_1)
	v_fmaak_f32 v20, s8, v19, 0x3ca908c9
	v_fmaak_f32 v20, v19, v20, 0xbd5c1c4e
	s_delay_alu instid0(VALU_DEP_1) | instskip(NEXT) | instid1(VALU_DEP_1)
	v_fmaak_f32 v20, v19, v20, 0x3e088382
	v_fmaak_f32 v20, v19, v20, 0xbeaaaa99
	s_delay_alu instid0(VALU_DEP_1) | instskip(NEXT) | instid1(VALU_DEP_1)
	v_mul_f32_e64 v20, |v5|, v20
	v_fma_f32 v19, v19, v20, |v5|
; %bb.11:                               ;   in Loop: Header=BB42_3 Depth=1
	s_or_b32 exec_lo, exec_lo, s0
	v_cvt_f32_f16_e32 v20, v6
                                        ; implicit-def: $vgpr22
	s_delay_alu instid0(VALU_DEP_1) | instskip(NEXT) | instid1(VALU_DEP_1)
	v_mul_f32_e32 v21, v20, v20
	v_mul_f32_e32 v21, v21, v20
	s_delay_alu instid0(VALU_DEP_1) | instskip(NEXT) | instid1(VALU_DEP_1)
	v_fma_mix_f32 v21, v21, s7, v6 op_sel_hi:[0,0,1]
	v_mul_f32_e32 v21, 0x3f4c422a, v21
	s_delay_alu instid0(VALU_DEP_1) | instskip(NEXT) | instid1(VALU_DEP_1)
	v_cmp_ngt_f32_e64 s0, 0x3f200000, |v21|
	s_and_saveexec_b32 s9, s0
	s_delay_alu instid0(SALU_CYCLE_1)
	s_xor_b32 s0, exec_lo, s9
	s_cbranch_execz .LBB42_13
; %bb.12:                               ;   in Loop: Header=BB42_3 Depth=1
	v_add_f32_e64 v22, |v21|, |v21|
	s_delay_alu instid0(VALU_DEP_1) | instskip(SKIP_1) | instid1(VALU_DEP_2)
	v_mul_f32_e32 v23, 0x3fb8aa3b, v22
	v_cmp_ngt_f32_e32 vcc_lo, 0xc2ce8ed0, v22
	v_rndne_f32_e32 v24, v23
	v_fma_f32 v25, 0x3fb8aa3b, v22, -v23
	s_delay_alu instid0(VALU_DEP_2) | instskip(NEXT) | instid1(VALU_DEP_2)
	v_sub_f32_e32 v23, v23, v24
	v_fmac_f32_e32 v25, 0x32a5705f, v22
	v_cvt_i32_f32_e32 v24, v24
	s_delay_alu instid0(VALU_DEP_2) | instskip(NEXT) | instid1(VALU_DEP_1)
	v_add_f32_e32 v23, v23, v25
	v_exp_f32_e32 v23, v23
	s_waitcnt_depctr 0xfff
	v_ldexp_f32 v23, v23, v24
	s_delay_alu instid0(VALU_DEP_1) | instskip(SKIP_1) | instid1(VALU_DEP_2)
	v_cndmask_b32_e32 v23, 0, v23, vcc_lo
	v_cmp_nlt_f32_e32 vcc_lo, 0x42b17218, v22
	v_cndmask_b32_e32 v22, 0x7f800000, v23, vcc_lo
	s_delay_alu instid0(VALU_DEP_1) | instskip(NEXT) | instid1(VALU_DEP_1)
	v_add_f32_e32 v22, 1.0, v22
	v_rcp_f32_e32 v22, v22
	s_waitcnt_depctr 0xfff
	v_fma_f32 v22, v22, -2.0, 1.0
.LBB42_13:                              ;   in Loop: Header=BB42_3 Depth=1
	s_and_not1_saveexec_b32 s0, s0
; %bb.14:                               ;   in Loop: Header=BB42_3 Depth=1
	v_mul_f32_e32 v22, v21, v21
	s_delay_alu instid0(VALU_DEP_1) | instskip(NEXT) | instid1(VALU_DEP_1)
	v_fmaak_f32 v23, s8, v22, 0x3ca908c9
	v_fmaak_f32 v23, v22, v23, 0xbd5c1c4e
	s_delay_alu instid0(VALU_DEP_1) | instskip(NEXT) | instid1(VALU_DEP_1)
	v_fmaak_f32 v23, v22, v23, 0x3e088382
	v_fmaak_f32 v23, v22, v23, 0xbeaaaa99
	s_delay_alu instid0(VALU_DEP_1) | instskip(NEXT) | instid1(VALU_DEP_1)
	v_mul_f32_e64 v23, |v21|, v23
	v_fma_f32 v22, v22, v23, |v21|
; %bb.15:                               ;   in Loop: Header=BB42_3 Depth=1
	s_or_b32 exec_lo, exec_lo, s0
	v_lshrrev_b32_e32 v6, 16, v6
                                        ; implicit-def: $vgpr24
	s_delay_alu instid0(VALU_DEP_1) | instskip(NEXT) | instid1(VALU_DEP_1)
	v_cvt_f32_f16_e32 v6, v6
	v_mul_f32_e32 v23, v6, v6
	s_delay_alu instid0(VALU_DEP_1) | instskip(NEXT) | instid1(VALU_DEP_1)
	v_mul_f32_e32 v23, v23, v6
	v_fmamk_f32 v23, v23, 0x3d372713, v6
	s_delay_alu instid0(VALU_DEP_1) | instskip(NEXT) | instid1(VALU_DEP_1)
	v_mul_f32_e32 v23, 0x3f4c422a, v23
	v_cmp_ngt_f32_e64 s0, 0x3f200000, |v23|
	s_delay_alu instid0(VALU_DEP_1) | instskip(NEXT) | instid1(SALU_CYCLE_1)
	s_and_saveexec_b32 s9, s0
	s_xor_b32 s0, exec_lo, s9
	s_cbranch_execz .LBB42_17
; %bb.16:                               ;   in Loop: Header=BB42_3 Depth=1
	v_add_f32_e64 v24, |v23|, |v23|
	s_delay_alu instid0(VALU_DEP_1) | instskip(SKIP_1) | instid1(VALU_DEP_2)
	v_mul_f32_e32 v25, 0x3fb8aa3b, v24
	v_cmp_ngt_f32_e32 vcc_lo, 0xc2ce8ed0, v24
	v_rndne_f32_e32 v26, v25
	v_fma_f32 v27, 0x3fb8aa3b, v24, -v25
	s_delay_alu instid0(VALU_DEP_2) | instskip(NEXT) | instid1(VALU_DEP_2)
	v_sub_f32_e32 v25, v25, v26
	v_fmac_f32_e32 v27, 0x32a5705f, v24
	v_cvt_i32_f32_e32 v26, v26
	s_delay_alu instid0(VALU_DEP_2) | instskip(NEXT) | instid1(VALU_DEP_1)
	v_add_f32_e32 v25, v25, v27
	v_exp_f32_e32 v25, v25
	s_waitcnt_depctr 0xfff
	v_ldexp_f32 v25, v25, v26
	s_delay_alu instid0(VALU_DEP_1) | instskip(SKIP_1) | instid1(VALU_DEP_2)
	v_cndmask_b32_e32 v25, 0, v25, vcc_lo
	v_cmp_nlt_f32_e32 vcc_lo, 0x42b17218, v24
	v_cndmask_b32_e32 v24, 0x7f800000, v25, vcc_lo
	s_delay_alu instid0(VALU_DEP_1) | instskip(NEXT) | instid1(VALU_DEP_1)
	v_add_f32_e32 v24, 1.0, v24
	v_rcp_f32_e32 v24, v24
	s_waitcnt_depctr 0xfff
	v_fma_f32 v24, v24, -2.0, 1.0
.LBB42_17:                              ;   in Loop: Header=BB42_3 Depth=1
	s_and_not1_saveexec_b32 s0, s0
; %bb.18:                               ;   in Loop: Header=BB42_3 Depth=1
	v_mul_f32_e32 v24, v23, v23
	s_delay_alu instid0(VALU_DEP_1) | instskip(NEXT) | instid1(VALU_DEP_1)
	v_fmaak_f32 v25, s8, v24, 0x3ca908c9
	v_fmaak_f32 v25, v24, v25, 0xbd5c1c4e
	s_delay_alu instid0(VALU_DEP_1) | instskip(NEXT) | instid1(VALU_DEP_1)
	v_fmaak_f32 v25, v24, v25, 0x3e088382
	v_fmaak_f32 v25, v24, v25, 0xbeaaaa99
	s_delay_alu instid0(VALU_DEP_1) | instskip(NEXT) | instid1(VALU_DEP_1)
	v_mul_f32_e64 v25, |v23|, v25
	v_fma_f32 v24, v24, v25, |v23|
; %bb.19:                               ;   in Loop: Header=BB42_3 Depth=1
	s_or_b32 exec_lo, exec_lo, s0
	v_cvt_f32_f16_e32 v25, v7
                                        ; implicit-def: $vgpr27
	s_delay_alu instid0(VALU_DEP_1) | instskip(NEXT) | instid1(VALU_DEP_1)
	v_mul_f32_e32 v26, v25, v25
	v_mul_f32_e32 v26, v26, v25
	s_delay_alu instid0(VALU_DEP_1) | instskip(NEXT) | instid1(VALU_DEP_1)
	v_fma_mix_f32 v26, v26, s7, v7 op_sel_hi:[0,0,1]
	v_mul_f32_e32 v26, 0x3f4c422a, v26
	s_delay_alu instid0(VALU_DEP_1) | instskip(NEXT) | instid1(VALU_DEP_1)
	v_cmp_ngt_f32_e64 s0, 0x3f200000, |v26|
	s_and_saveexec_b32 s9, s0
	s_delay_alu instid0(SALU_CYCLE_1)
	s_xor_b32 s0, exec_lo, s9
	s_cbranch_execz .LBB42_21
; %bb.20:                               ;   in Loop: Header=BB42_3 Depth=1
	v_add_f32_e64 v27, |v26|, |v26|
	s_delay_alu instid0(VALU_DEP_1) | instskip(SKIP_1) | instid1(VALU_DEP_2)
	v_mul_f32_e32 v28, 0x3fb8aa3b, v27
	v_cmp_ngt_f32_e32 vcc_lo, 0xc2ce8ed0, v27
	v_rndne_f32_e32 v29, v28
	v_fma_f32 v30, 0x3fb8aa3b, v27, -v28
	s_delay_alu instid0(VALU_DEP_2) | instskip(NEXT) | instid1(VALU_DEP_2)
	v_sub_f32_e32 v28, v28, v29
	v_fmac_f32_e32 v30, 0x32a5705f, v27
	v_cvt_i32_f32_e32 v29, v29
	s_delay_alu instid0(VALU_DEP_2) | instskip(NEXT) | instid1(VALU_DEP_1)
	v_add_f32_e32 v28, v28, v30
	v_exp_f32_e32 v28, v28
	s_waitcnt_depctr 0xfff
	v_ldexp_f32 v28, v28, v29
	s_delay_alu instid0(VALU_DEP_1) | instskip(SKIP_1) | instid1(VALU_DEP_2)
	v_cndmask_b32_e32 v28, 0, v28, vcc_lo
	v_cmp_nlt_f32_e32 vcc_lo, 0x42b17218, v27
	v_cndmask_b32_e32 v27, 0x7f800000, v28, vcc_lo
	s_delay_alu instid0(VALU_DEP_1) | instskip(NEXT) | instid1(VALU_DEP_1)
	v_add_f32_e32 v27, 1.0, v27
	v_rcp_f32_e32 v27, v27
	s_waitcnt_depctr 0xfff
	v_fma_f32 v27, v27, -2.0, 1.0
.LBB42_21:                              ;   in Loop: Header=BB42_3 Depth=1
	s_and_not1_saveexec_b32 s0, s0
; %bb.22:                               ;   in Loop: Header=BB42_3 Depth=1
	v_mul_f32_e32 v27, v26, v26
	s_delay_alu instid0(VALU_DEP_1) | instskip(NEXT) | instid1(VALU_DEP_1)
	v_fmaak_f32 v28, s8, v27, 0x3ca908c9
	v_fmaak_f32 v28, v27, v28, 0xbd5c1c4e
	s_delay_alu instid0(VALU_DEP_1) | instskip(NEXT) | instid1(VALU_DEP_1)
	v_fmaak_f32 v28, v27, v28, 0x3e088382
	v_fmaak_f32 v28, v27, v28, 0xbeaaaa99
	s_delay_alu instid0(VALU_DEP_1) | instskip(NEXT) | instid1(VALU_DEP_1)
	v_mul_f32_e64 v28, |v26|, v28
	v_fma_f32 v27, v27, v28, |v26|
; %bb.23:                               ;   in Loop: Header=BB42_3 Depth=1
	s_or_b32 exec_lo, exec_lo, s0
	v_lshrrev_b32_e32 v7, 16, v7
                                        ; implicit-def: $vgpr29
	s_delay_alu instid0(VALU_DEP_1) | instskip(NEXT) | instid1(VALU_DEP_1)
	v_cvt_f32_f16_e32 v28, v7
	v_mul_f32_e32 v7, v28, v28
	s_delay_alu instid0(VALU_DEP_1) | instskip(NEXT) | instid1(VALU_DEP_1)
	v_mul_f32_e32 v7, v7, v28
	v_fmamk_f32 v7, v7, 0x3d372713, v28
	s_delay_alu instid0(VALU_DEP_1) | instskip(NEXT) | instid1(VALU_DEP_1)
	v_mul_f32_e32 v7, 0x3f4c422a, v7
	v_cmp_ngt_f32_e64 s0, 0x3f200000, |v7|
	s_delay_alu instid0(VALU_DEP_1) | instskip(NEXT) | instid1(SALU_CYCLE_1)
	s_and_saveexec_b32 s9, s0
	s_xor_b32 s0, exec_lo, s9
	s_cbranch_execz .LBB42_25
; %bb.24:                               ;   in Loop: Header=BB42_3 Depth=1
	v_add_f32_e64 v29, |v7|, |v7|
	s_delay_alu instid0(VALU_DEP_1) | instskip(SKIP_1) | instid1(VALU_DEP_2)
	v_mul_f32_e32 v30, 0x3fb8aa3b, v29
	v_cmp_ngt_f32_e32 vcc_lo, 0xc2ce8ed0, v29
	v_rndne_f32_e32 v31, v30
	v_fma_f32 v32, 0x3fb8aa3b, v29, -v30
	s_delay_alu instid0(VALU_DEP_2) | instskip(NEXT) | instid1(VALU_DEP_2)
	v_sub_f32_e32 v30, v30, v31
	v_fmac_f32_e32 v32, 0x32a5705f, v29
	v_cvt_i32_f32_e32 v31, v31
	s_delay_alu instid0(VALU_DEP_2) | instskip(NEXT) | instid1(VALU_DEP_1)
	v_add_f32_e32 v30, v30, v32
	v_exp_f32_e32 v30, v30
	s_waitcnt_depctr 0xfff
	v_ldexp_f32 v30, v30, v31
	s_delay_alu instid0(VALU_DEP_1) | instskip(SKIP_1) | instid1(VALU_DEP_2)
	v_cndmask_b32_e32 v30, 0, v30, vcc_lo
	v_cmp_nlt_f32_e32 vcc_lo, 0x42b17218, v29
	v_cndmask_b32_e32 v29, 0x7f800000, v30, vcc_lo
	s_delay_alu instid0(VALU_DEP_1) | instskip(NEXT) | instid1(VALU_DEP_1)
	v_add_f32_e32 v29, 1.0, v29
	v_rcp_f32_e32 v29, v29
	s_waitcnt_depctr 0xfff
	v_fma_f32 v29, v29, -2.0, 1.0
.LBB42_25:                              ;   in Loop: Header=BB42_3 Depth=1
	s_and_not1_saveexec_b32 s0, s0
; %bb.26:                               ;   in Loop: Header=BB42_3 Depth=1
	v_mul_f32_e32 v29, v7, v7
	s_delay_alu instid0(VALU_DEP_1) | instskip(NEXT) | instid1(VALU_DEP_1)
	v_fmaak_f32 v30, s8, v29, 0x3ca908c9
	v_fmaak_f32 v30, v29, v30, 0xbd5c1c4e
	s_delay_alu instid0(VALU_DEP_1) | instskip(NEXT) | instid1(VALU_DEP_1)
	v_fmaak_f32 v30, v29, v30, 0x3e088382
	v_fmaak_f32 v30, v29, v30, 0xbeaaaa99
	s_delay_alu instid0(VALU_DEP_1) | instskip(NEXT) | instid1(VALU_DEP_1)
	v_mul_f32_e64 v30, |v7|, v30
	v_fma_f32 v29, v29, v30, |v7|
; %bb.27:                               ;   in Loop: Header=BB42_3 Depth=1
	s_or_b32 exec_lo, exec_lo, s0
	v_cvt_f32_f16_e32 v30, v8
                                        ; implicit-def: $vgpr32
	s_delay_alu instid0(VALU_DEP_1) | instskip(NEXT) | instid1(VALU_DEP_1)
	v_mul_f32_e32 v31, v30, v30
	v_mul_f32_e32 v31, v31, v30
	s_delay_alu instid0(VALU_DEP_1) | instskip(NEXT) | instid1(VALU_DEP_1)
	v_fma_mix_f32 v31, v31, s7, v8 op_sel_hi:[0,0,1]
	v_mul_f32_e32 v31, 0x3f4c422a, v31
	s_delay_alu instid0(VALU_DEP_1) | instskip(NEXT) | instid1(VALU_DEP_1)
	v_cmp_ngt_f32_e64 s0, 0x3f200000, |v31|
	s_and_saveexec_b32 s9, s0
	s_delay_alu instid0(SALU_CYCLE_1)
	s_xor_b32 s0, exec_lo, s9
	s_cbranch_execz .LBB42_29
; %bb.28:                               ;   in Loop: Header=BB42_3 Depth=1
	v_add_f32_e64 v32, |v31|, |v31|
	s_delay_alu instid0(VALU_DEP_1) | instskip(SKIP_1) | instid1(VALU_DEP_2)
	v_mul_f32_e32 v33, 0x3fb8aa3b, v32
	v_cmp_ngt_f32_e32 vcc_lo, 0xc2ce8ed0, v32
	v_rndne_f32_e32 v34, v33
	v_fma_f32 v35, 0x3fb8aa3b, v32, -v33
	s_delay_alu instid0(VALU_DEP_2) | instskip(NEXT) | instid1(VALU_DEP_2)
	v_sub_f32_e32 v33, v33, v34
	v_fmac_f32_e32 v35, 0x32a5705f, v32
	v_cvt_i32_f32_e32 v34, v34
	s_delay_alu instid0(VALU_DEP_2) | instskip(NEXT) | instid1(VALU_DEP_1)
	v_add_f32_e32 v33, v33, v35
	v_exp_f32_e32 v33, v33
	s_waitcnt_depctr 0xfff
	v_ldexp_f32 v33, v33, v34
	s_delay_alu instid0(VALU_DEP_1) | instskip(SKIP_1) | instid1(VALU_DEP_2)
	v_cndmask_b32_e32 v33, 0, v33, vcc_lo
	v_cmp_nlt_f32_e32 vcc_lo, 0x42b17218, v32
	v_cndmask_b32_e32 v32, 0x7f800000, v33, vcc_lo
	s_delay_alu instid0(VALU_DEP_1) | instskip(NEXT) | instid1(VALU_DEP_1)
	v_add_f32_e32 v32, 1.0, v32
	v_rcp_f32_e32 v32, v32
	s_waitcnt_depctr 0xfff
	v_fma_f32 v32, v32, -2.0, 1.0
.LBB42_29:                              ;   in Loop: Header=BB42_3 Depth=1
	s_and_not1_saveexec_b32 s0, s0
; %bb.30:                               ;   in Loop: Header=BB42_3 Depth=1
	v_mul_f32_e32 v32, v31, v31
	s_delay_alu instid0(VALU_DEP_1) | instskip(NEXT) | instid1(VALU_DEP_1)
	v_fmaak_f32 v33, s8, v32, 0x3ca908c9
	v_fmaak_f32 v33, v32, v33, 0xbd5c1c4e
	s_delay_alu instid0(VALU_DEP_1) | instskip(NEXT) | instid1(VALU_DEP_1)
	v_fmaak_f32 v33, v32, v33, 0x3e088382
	v_fmaak_f32 v33, v32, v33, 0xbeaaaa99
	s_delay_alu instid0(VALU_DEP_1) | instskip(NEXT) | instid1(VALU_DEP_1)
	v_mul_f32_e64 v33, |v31|, v33
	v_fma_f32 v32, v32, v33, |v31|
; %bb.31:                               ;   in Loop: Header=BB42_3 Depth=1
	s_or_b32 exec_lo, exec_lo, s0
	v_lshrrev_b32_e32 v8, 16, v8
                                        ; implicit-def: $vgpr34
	s_delay_alu instid0(VALU_DEP_1) | instskip(NEXT) | instid1(VALU_DEP_1)
	v_cvt_f32_f16_e32 v8, v8
	v_mul_f32_e32 v33, v8, v8
	s_delay_alu instid0(VALU_DEP_1) | instskip(NEXT) | instid1(VALU_DEP_1)
	v_mul_f32_e32 v33, v33, v8
	v_fmamk_f32 v33, v33, 0x3d372713, v8
	s_delay_alu instid0(VALU_DEP_1) | instskip(NEXT) | instid1(VALU_DEP_1)
	v_mul_f32_e32 v33, 0x3f4c422a, v33
	v_cmp_ngt_f32_e64 s0, 0x3f200000, |v33|
	s_delay_alu instid0(VALU_DEP_1) | instskip(NEXT) | instid1(SALU_CYCLE_1)
	s_and_saveexec_b32 s9, s0
	s_xor_b32 s0, exec_lo, s9
	s_cbranch_execz .LBB42_33
; %bb.32:                               ;   in Loop: Header=BB42_3 Depth=1
	v_add_f32_e64 v34, |v33|, |v33|
	s_delay_alu instid0(VALU_DEP_1) | instskip(SKIP_1) | instid1(VALU_DEP_2)
	v_mul_f32_e32 v35, 0x3fb8aa3b, v34
	v_cmp_ngt_f32_e32 vcc_lo, 0xc2ce8ed0, v34
	v_rndne_f32_e32 v36, v35
	v_fma_f32 v37, 0x3fb8aa3b, v34, -v35
	s_delay_alu instid0(VALU_DEP_2) | instskip(NEXT) | instid1(VALU_DEP_2)
	v_sub_f32_e32 v35, v35, v36
	v_fmac_f32_e32 v37, 0x32a5705f, v34
	v_cvt_i32_f32_e32 v36, v36
	s_delay_alu instid0(VALU_DEP_2) | instskip(NEXT) | instid1(VALU_DEP_1)
	v_add_f32_e32 v35, v35, v37
	v_exp_f32_e32 v35, v35
	s_waitcnt_depctr 0xfff
	v_ldexp_f32 v35, v35, v36
	s_delay_alu instid0(VALU_DEP_1) | instskip(SKIP_1) | instid1(VALU_DEP_2)
	v_cndmask_b32_e32 v35, 0, v35, vcc_lo
	v_cmp_nlt_f32_e32 vcc_lo, 0x42b17218, v34
	v_cndmask_b32_e32 v34, 0x7f800000, v35, vcc_lo
	s_delay_alu instid0(VALU_DEP_1) | instskip(NEXT) | instid1(VALU_DEP_1)
	v_add_f32_e32 v34, 1.0, v34
	v_rcp_f32_e32 v34, v34
	s_waitcnt_depctr 0xfff
	v_fma_f32 v34, v34, -2.0, 1.0
.LBB42_33:                              ;   in Loop: Header=BB42_3 Depth=1
	s_and_not1_saveexec_b32 s0, s0
	s_cbranch_execz .LBB42_2
; %bb.34:                               ;   in Loop: Header=BB42_3 Depth=1
	v_mul_f32_e32 v34, v33, v33
	s_delay_alu instid0(VALU_DEP_1) | instskip(NEXT) | instid1(VALU_DEP_1)
	v_fmaak_f32 v35, s8, v34, 0x3ca908c9
	v_fmaak_f32 v35, v34, v35, 0xbd5c1c4e
	s_delay_alu instid0(VALU_DEP_1) | instskip(NEXT) | instid1(VALU_DEP_1)
	v_fmaak_f32 v35, v34, v35, 0x3e088382
	v_fmaak_f32 v35, v34, v35, 0xbeaaaa99
	s_delay_alu instid0(VALU_DEP_1) | instskip(NEXT) | instid1(VALU_DEP_1)
	v_mul_f32_e64 v35, |v33|, v35
	v_fma_f32 v34, v34, v35, |v33|
	s_branch .LBB42_2
.LBB42_35:
	s_nop 0
	s_sendmsg sendmsg(MSG_DEALLOC_VGPRS)
	s_endpgm
	.section	.rodata,"a",@progbits
	.p2align	6, 0x0
	.amdhsa_kernel _ZN4vllm18act_and_mul_kernelIN3c104HalfE7__half2TnPFT_RKS4_EXadL_ZNS_16gelu_tanh_kernelIS2_EES4_S6_EETnPFT0_RKSA_EXadL_ZNS_23packed_gelu_tanh_kernelIS3_EES4_S6_EELb1ELb1ELb0ELb0EEEvPS4_PS5_if
		.amdhsa_group_segment_fixed_size 0
		.amdhsa_private_segment_fixed_size 0
		.amdhsa_kernarg_size 280
		.amdhsa_user_sgpr_count 15
		.amdhsa_user_sgpr_dispatch_ptr 0
		.amdhsa_user_sgpr_queue_ptr 0
		.amdhsa_user_sgpr_kernarg_segment_ptr 1
		.amdhsa_user_sgpr_dispatch_id 0
		.amdhsa_user_sgpr_private_segment_size 0
		.amdhsa_wavefront_size32 1
		.amdhsa_uses_dynamic_stack 0
		.amdhsa_enable_private_segment 0
		.amdhsa_system_sgpr_workgroup_id_x 1
		.amdhsa_system_sgpr_workgroup_id_y 0
		.amdhsa_system_sgpr_workgroup_id_z 0
		.amdhsa_system_sgpr_workgroup_info 0
		.amdhsa_system_vgpr_workitem_id 0
		.amdhsa_next_free_vgpr 38
		.amdhsa_next_free_sgpr 16
		.amdhsa_reserve_vcc 1
		.amdhsa_float_round_mode_32 0
		.amdhsa_float_round_mode_16_64 0
		.amdhsa_float_denorm_mode_32 3
		.amdhsa_float_denorm_mode_16_64 3
		.amdhsa_dx10_clamp 1
		.amdhsa_ieee_mode 1
		.amdhsa_fp16_overflow 0
		.amdhsa_workgroup_processor_mode 1
		.amdhsa_memory_ordered 1
		.amdhsa_forward_progress 0
		.amdhsa_shared_vgpr_count 0
		.amdhsa_exception_fp_ieee_invalid_op 0
		.amdhsa_exception_fp_denorm_src 0
		.amdhsa_exception_fp_ieee_div_zero 0
		.amdhsa_exception_fp_ieee_overflow 0
		.amdhsa_exception_fp_ieee_underflow 0
		.amdhsa_exception_fp_ieee_inexact 0
		.amdhsa_exception_int_div_zero 0
	.end_amdhsa_kernel
	.section	.text._ZN4vllm18act_and_mul_kernelIN3c104HalfE7__half2TnPFT_RKS4_EXadL_ZNS_16gelu_tanh_kernelIS2_EES4_S6_EETnPFT0_RKSA_EXadL_ZNS_23packed_gelu_tanh_kernelIS3_EES4_S6_EELb1ELb1ELb0ELb0EEEvPS4_PS5_if,"axG",@progbits,_ZN4vllm18act_and_mul_kernelIN3c104HalfE7__half2TnPFT_RKS4_EXadL_ZNS_16gelu_tanh_kernelIS2_EES4_S6_EETnPFT0_RKSA_EXadL_ZNS_23packed_gelu_tanh_kernelIS3_EES4_S6_EELb1ELb1ELb0ELb0EEEvPS4_PS5_if,comdat
.Lfunc_end42:
	.size	_ZN4vllm18act_and_mul_kernelIN3c104HalfE7__half2TnPFT_RKS4_EXadL_ZNS_16gelu_tanh_kernelIS2_EES4_S6_EETnPFT0_RKSA_EXadL_ZNS_23packed_gelu_tanh_kernelIS3_EES4_S6_EELb1ELb1ELb0ELb0EEEvPS4_PS5_if, .Lfunc_end42-_ZN4vllm18act_and_mul_kernelIN3c104HalfE7__half2TnPFT_RKS4_EXadL_ZNS_16gelu_tanh_kernelIS2_EES4_S6_EETnPFT0_RKSA_EXadL_ZNS_23packed_gelu_tanh_kernelIS3_EES4_S6_EELb1ELb1ELb0ELb0EEEvPS4_PS5_if
                                        ; -- End function
	.section	.AMDGPU.csdata,"",@progbits
; Kernel info:
; codeLenInByte = 2816
; NumSgprs: 18
; NumVgprs: 38
; ScratchSize: 0
; MemoryBound: 0
; FloatMode: 240
; IeeeMode: 1
; LDSByteSize: 0 bytes/workgroup (compile time only)
; SGPRBlocks: 2
; VGPRBlocks: 4
; NumSGPRsForWavesPerEU: 18
; NumVGPRsForWavesPerEU: 38
; Occupancy: 16
; WaveLimiterHint : 0
; COMPUTE_PGM_RSRC2:SCRATCH_EN: 0
; COMPUTE_PGM_RSRC2:USER_SGPR: 15
; COMPUTE_PGM_RSRC2:TRAP_HANDLER: 0
; COMPUTE_PGM_RSRC2:TGID_X_EN: 1
; COMPUTE_PGM_RSRC2:TGID_Y_EN: 0
; COMPUTE_PGM_RSRC2:TGID_Z_EN: 0
; COMPUTE_PGM_RSRC2:TIDIG_COMP_CNT: 0
	.section	.text._ZN4vllm18act_and_mul_kernelIN3c108BFloat16E15__hip_bfloat162TnPFT_RKS4_EXadL_ZNS_16gelu_tanh_kernelIS2_EES4_S6_EETnPFT0_RKSA_EXadL_ZNS_23packed_gelu_tanh_kernelIS3_EES4_S6_EELb1ELb1ELb0ELb0EEEvPS4_PS5_if,"axG",@progbits,_ZN4vllm18act_and_mul_kernelIN3c108BFloat16E15__hip_bfloat162TnPFT_RKS4_EXadL_ZNS_16gelu_tanh_kernelIS2_EES4_S6_EETnPFT0_RKSA_EXadL_ZNS_23packed_gelu_tanh_kernelIS3_EES4_S6_EELb1ELb1ELb0ELb0EEEvPS4_PS5_if,comdat
	.protected	_ZN4vllm18act_and_mul_kernelIN3c108BFloat16E15__hip_bfloat162TnPFT_RKS4_EXadL_ZNS_16gelu_tanh_kernelIS2_EES4_S6_EETnPFT0_RKSA_EXadL_ZNS_23packed_gelu_tanh_kernelIS3_EES4_S6_EELb1ELb1ELb0ELb0EEEvPS4_PS5_if ; -- Begin function _ZN4vllm18act_and_mul_kernelIN3c108BFloat16E15__hip_bfloat162TnPFT_RKS4_EXadL_ZNS_16gelu_tanh_kernelIS2_EES4_S6_EETnPFT0_RKSA_EXadL_ZNS_23packed_gelu_tanh_kernelIS3_EES4_S6_EELb1ELb1ELb0ELb0EEEvPS4_PS5_if
	.globl	_ZN4vllm18act_and_mul_kernelIN3c108BFloat16E15__hip_bfloat162TnPFT_RKS4_EXadL_ZNS_16gelu_tanh_kernelIS2_EES4_S6_EETnPFT0_RKSA_EXadL_ZNS_23packed_gelu_tanh_kernelIS3_EES4_S6_EELb1ELb1ELb0ELb0EEEvPS4_PS5_if
	.p2align	8
	.type	_ZN4vllm18act_and_mul_kernelIN3c108BFloat16E15__hip_bfloat162TnPFT_RKS4_EXadL_ZNS_16gelu_tanh_kernelIS2_EES4_S6_EETnPFT0_RKSA_EXadL_ZNS_23packed_gelu_tanh_kernelIS3_EES4_S6_EELb1ELb1ELb0ELb0EEEvPS4_PS5_if,@function
_ZN4vllm18act_and_mul_kernelIN3c108BFloat16E15__hip_bfloat162TnPFT_RKS4_EXadL_ZNS_16gelu_tanh_kernelIS2_EES4_S6_EETnPFT0_RKSA_EXadL_ZNS_23packed_gelu_tanh_kernelIS3_EES4_S6_EELb1ELb1ELb0ELb0EEEvPS4_PS5_if: ; @_ZN4vllm18act_and_mul_kernelIN3c108BFloat16E15__hip_bfloat162TnPFT_RKS4_EXadL_ZNS_16gelu_tanh_kernelIS2_EES4_S6_EETnPFT0_RKSA_EXadL_ZNS_23packed_gelu_tanh_kernelIS3_EES4_S6_EELb1ELb1ELb0ELb0EEEvPS4_PS5_if
; %bb.0:
	s_load_b32 s2, s[0:1], 0x10
	s_mov_b32 s5, exec_lo
	s_waitcnt lgkmcnt(0)
	s_ashr_i32 s3, s2, 31
	s_delay_alu instid0(SALU_CYCLE_1) | instskip(NEXT) | instid1(SALU_CYCLE_1)
	s_lshr_b32 s4, s3, 29
	s_add_i32 s4, s2, s4
	s_delay_alu instid0(SALU_CYCLE_1) | instskip(NEXT) | instid1(SALU_CYCLE_1)
	s_ashr_i32 s4, s4, 3
	v_cmpx_gt_i32_e64 s4, v0
	s_cbranch_execz .LBB43_99
; %bb.1:
	s_clause 0x1
	s_load_b32 s5, s[0:1], 0x24
	s_load_b128 s[8:11], s[0:1], 0x0
	s_mul_i32 s12, s15, s2
	s_mov_b32 s1, 0
	s_lshl_b32 s0, s12, 1
	v_lshlrev_b32_e32 v1, 4, v0
	s_lshl_b64 s[6:7], s[0:1], 1
	s_mov_b32 s13, s1
	s_waitcnt lgkmcnt(0)
	s_and_b32 s5, s5, 0xffff
	s_add_u32 s0, s10, s6
	s_addc_u32 s7, s11, s7
	v_add_co_u32 v9, s0, s0, v1
	s_lshl_b64 s[10:11], s[12:13], 1
	s_lshl_b32 s6, s5, 4
	s_lshl_b64 s[2:3], s[2:3], 1
	v_add_co_ci_u32_e64 v10, null, s7, 0, s0
	s_add_u32 s0, s8, s10
	s_addc_u32 s7, s9, s11
	v_add_co_u32 v11, vcc_lo, v9, s2
	v_add_co_u32 v13, s0, s0, v1
	v_add_co_ci_u32_e32 v12, vcc_lo, s3, v10, vcc_lo
	v_add_co_ci_u32_e64 v14, null, s7, 0, s0
	s_mov_b64 s[2:3], 0
	s_mov_b32 s7, 0xbbbac73d
	s_branch .LBB43_3
.LBB43_2:                               ;   in Loop: Header=BB43_3 Depth=1
	s_or_b32 exec_lo, exec_lo, s0
	v_add_nc_u32_e32 v0, s5, v0
	v_perm_b32 v1, v1, v5, 0x7060302
	v_add_co_u32 v5, s0, v13, s2
	v_perm_b32 v4, v4, v8, 0x7060302
	s_delay_alu instid0(VALU_DEP_4)
	v_cmp_le_i32_e32 vcc_lo, s4, v0
	v_perm_b32 v3, v3, v7, 0x7060302
	v_perm_b32 v2, v2, v6, 0x7060302
	v_add_co_ci_u32_e64 v6, s0, s3, v14, s0
	s_add_u32 s2, s2, s6
	s_addc_u32 s3, s3, 0
	s_or_b32 s1, vcc_lo, s1
	global_store_b128 v[5:6], v[1:4], off
	s_and_not1_b32 exec_lo, exec_lo, s1
	s_cbranch_execz .LBB43_99
.LBB43_3:                               ; =>This Inner Loop Header: Depth=1
	v_add_co_u32 v1, vcc_lo, v9, s2
	v_add_co_ci_u32_e32 v2, vcc_lo, s3, v10, vcc_lo
                                        ; implicit-def: $vgpr18
	global_load_b128 v[5:8], v[1:2], off
	v_add_co_u32 v1, vcc_lo, v11, s2
	v_add_co_ci_u32_e32 v2, vcc_lo, s3, v12, vcc_lo
	global_load_b128 v[1:4], v[1:2], off
	s_waitcnt vmcnt(1)
	v_lshlrev_b32_e32 v15, 16, v5
	s_delay_alu instid0(VALU_DEP_1) | instskip(NEXT) | instid1(VALU_DEP_1)
	v_mul_f32_e32 v16, v15, v15
	v_mul_f32_e32 v16, v16, v15
	s_delay_alu instid0(VALU_DEP_1) | instskip(NEXT) | instid1(VALU_DEP_1)
	v_fmamk_f32 v16, v16, 0x3d372713, v15
	v_mul_f32_e32 v16, 0x3f4c422a, v16
	s_delay_alu instid0(VALU_DEP_1) | instskip(NEXT) | instid1(VALU_DEP_1)
	v_cmp_ngt_f32_e64 s0, 0x3f200000, |v16|
	s_and_saveexec_b32 s8, s0
	s_delay_alu instid0(SALU_CYCLE_1)
	s_xor_b32 s0, exec_lo, s8
	s_cbranch_execz .LBB43_5
; %bb.4:                                ;   in Loop: Header=BB43_3 Depth=1
	v_add_f32_e64 v17, |v16|, |v16|
	s_delay_alu instid0(VALU_DEP_1) | instskip(SKIP_1) | instid1(VALU_DEP_2)
	v_mul_f32_e32 v18, 0x3fb8aa3b, v17
	v_cmp_ngt_f32_e32 vcc_lo, 0xc2ce8ed0, v17
	v_rndne_f32_e32 v19, v18
	v_fma_f32 v20, 0x3fb8aa3b, v17, -v18
	s_delay_alu instid0(VALU_DEP_2) | instskip(NEXT) | instid1(VALU_DEP_2)
	v_sub_f32_e32 v18, v18, v19
	v_fmac_f32_e32 v20, 0x32a5705f, v17
	v_cvt_i32_f32_e32 v19, v19
	s_delay_alu instid0(VALU_DEP_2) | instskip(NEXT) | instid1(VALU_DEP_1)
	v_add_f32_e32 v18, v18, v20
	v_exp_f32_e32 v18, v18
	s_waitcnt_depctr 0xfff
	v_ldexp_f32 v18, v18, v19
	s_delay_alu instid0(VALU_DEP_1) | instskip(SKIP_1) | instid1(VALU_DEP_2)
	v_cndmask_b32_e32 v18, 0, v18, vcc_lo
	v_cmp_nlt_f32_e32 vcc_lo, 0x42b17218, v17
	v_cndmask_b32_e32 v17, 0x7f800000, v18, vcc_lo
	s_delay_alu instid0(VALU_DEP_1) | instskip(NEXT) | instid1(VALU_DEP_1)
	v_add_f32_e32 v17, 1.0, v17
	v_rcp_f32_e32 v17, v17
	s_waitcnt_depctr 0xfff
	v_fma_f32 v18, v17, -2.0, 1.0
.LBB43_5:                               ;   in Loop: Header=BB43_3 Depth=1
	s_and_not1_saveexec_b32 s0, s0
; %bb.6:                                ;   in Loop: Header=BB43_3 Depth=1
	v_mul_f32_e32 v17, v16, v16
	s_delay_alu instid0(VALU_DEP_1) | instskip(NEXT) | instid1(VALU_DEP_1)
	v_fmaak_f32 v18, s7, v17, 0x3ca908c9
	v_fmaak_f32 v18, v17, v18, 0xbd5c1c4e
	s_delay_alu instid0(VALU_DEP_1) | instskip(NEXT) | instid1(VALU_DEP_1)
	v_fmaak_f32 v18, v17, v18, 0x3e088382
	v_fmaak_f32 v18, v17, v18, 0xbeaaaa99
	s_delay_alu instid0(VALU_DEP_1) | instskip(NEXT) | instid1(VALU_DEP_1)
	v_mul_f32_e64 v18, |v16|, v18
	v_fma_f32 v18, v17, v18, |v16|
; %bb.7:                                ;   in Loop: Header=BB43_3 Depth=1
	s_or_b32 exec_lo, exec_lo, s0
	v_and_b32_e32 v5, 0xffff0000, v5
                                        ; implicit-def: $vgpr19
	s_delay_alu instid0(VALU_DEP_1) | instskip(NEXT) | instid1(VALU_DEP_1)
	v_mul_f32_e32 v17, v5, v5
	v_mul_f32_e32 v17, v17, v5
	s_delay_alu instid0(VALU_DEP_1) | instskip(NEXT) | instid1(VALU_DEP_1)
	v_fmamk_f32 v17, v17, 0x3d372713, v5
	v_mul_f32_e32 v17, 0x3f4c422a, v17
	s_delay_alu instid0(VALU_DEP_1) | instskip(NEXT) | instid1(VALU_DEP_1)
	v_cmp_ngt_f32_e64 s0, 0x3f200000, |v17|
	s_and_saveexec_b32 s8, s0
	s_delay_alu instid0(SALU_CYCLE_1)
	s_xor_b32 s0, exec_lo, s8
	s_cbranch_execz .LBB43_9
; %bb.8:                                ;   in Loop: Header=BB43_3 Depth=1
	v_add_f32_e64 v19, |v17|, |v17|
	s_delay_alu instid0(VALU_DEP_1) | instskip(SKIP_1) | instid1(VALU_DEP_2)
	v_mul_f32_e32 v20, 0x3fb8aa3b, v19
	v_cmp_ngt_f32_e32 vcc_lo, 0xc2ce8ed0, v19
	v_rndne_f32_e32 v21, v20
	v_fma_f32 v22, 0x3fb8aa3b, v19, -v20
	s_delay_alu instid0(VALU_DEP_2) | instskip(NEXT) | instid1(VALU_DEP_2)
	v_sub_f32_e32 v20, v20, v21
	v_fmac_f32_e32 v22, 0x32a5705f, v19
	v_cvt_i32_f32_e32 v21, v21
	s_delay_alu instid0(VALU_DEP_2) | instskip(NEXT) | instid1(VALU_DEP_1)
	v_add_f32_e32 v20, v20, v22
	v_exp_f32_e32 v20, v20
	s_waitcnt_depctr 0xfff
	v_ldexp_f32 v20, v20, v21
	s_delay_alu instid0(VALU_DEP_1) | instskip(SKIP_1) | instid1(VALU_DEP_2)
	v_cndmask_b32_e32 v20, 0, v20, vcc_lo
	v_cmp_nlt_f32_e32 vcc_lo, 0x42b17218, v19
	v_cndmask_b32_e32 v19, 0x7f800000, v20, vcc_lo
	s_delay_alu instid0(VALU_DEP_1) | instskip(NEXT) | instid1(VALU_DEP_1)
	v_add_f32_e32 v19, 1.0, v19
	v_rcp_f32_e32 v19, v19
	s_waitcnt_depctr 0xfff
	v_fma_f32 v19, v19, -2.0, 1.0
.LBB43_9:                               ;   in Loop: Header=BB43_3 Depth=1
	s_and_not1_saveexec_b32 s0, s0
; %bb.10:                               ;   in Loop: Header=BB43_3 Depth=1
	v_mul_f32_e32 v19, v17, v17
	s_delay_alu instid0(VALU_DEP_1) | instskip(NEXT) | instid1(VALU_DEP_1)
	v_fmaak_f32 v20, s7, v19, 0x3ca908c9
	v_fmaak_f32 v20, v19, v20, 0xbd5c1c4e
	s_delay_alu instid0(VALU_DEP_1) | instskip(NEXT) | instid1(VALU_DEP_1)
	v_fmaak_f32 v20, v19, v20, 0x3e088382
	v_fmaak_f32 v20, v19, v20, 0xbeaaaa99
	s_delay_alu instid0(VALU_DEP_1) | instskip(NEXT) | instid1(VALU_DEP_1)
	v_mul_f32_e64 v20, |v17|, v20
	v_fma_f32 v19, v19, v20, |v17|
; %bb.11:                               ;   in Loop: Header=BB43_3 Depth=1
	s_or_b32 exec_lo, exec_lo, s0
	v_bfi_b32 v16, 0x7fffffff, v18, v16
	s_delay_alu instid0(VALU_DEP_1) | instskip(NEXT) | instid1(VALU_DEP_1)
	v_dual_mul_f32 v15, 0.5, v15 :: v_dual_add_f32 v16, 1.0, v16
	v_mul_f32_e32 v16, v15, v16
	s_delay_alu instid0(VALU_DEP_1) | instskip(NEXT) | instid1(VALU_DEP_1)
	v_and_b32_e32 v15, 0x7f800000, v16
	v_cmp_ne_u32_e32 vcc_lo, 0x7f800000, v15
                                        ; implicit-def: $vgpr15
	s_and_saveexec_b32 s0, vcc_lo
	s_delay_alu instid0(SALU_CYCLE_1)
	s_xor_b32 s0, exec_lo, s0
; %bb.12:                               ;   in Loop: Header=BB43_3 Depth=1
	v_bfe_u32 v15, v16, 16, 1
	s_delay_alu instid0(VALU_DEP_1)
	v_add3_u32 v15, v16, v15, 0x7fff
                                        ; implicit-def: $vgpr16
; %bb.13:                               ;   in Loop: Header=BB43_3 Depth=1
	s_and_not1_saveexec_b32 s0, s0
; %bb.14:                               ;   in Loop: Header=BB43_3 Depth=1
	v_and_b32_e32 v15, 0xffff, v16
	v_or_b32_e32 v18, 0x10000, v16
	s_delay_alu instid0(VALU_DEP_2) | instskip(NEXT) | instid1(VALU_DEP_2)
	v_cmp_eq_u32_e32 vcc_lo, 0, v15
	v_cndmask_b32_e32 v15, v18, v16, vcc_lo
; %bb.15:                               ;   in Loop: Header=BB43_3 Depth=1
	s_or_b32 exec_lo, exec_lo, s0
	v_bfi_b32 v16, 0x7fffffff, v19, v17
	s_delay_alu instid0(VALU_DEP_1) | instskip(NEXT) | instid1(VALU_DEP_1)
	v_dual_mul_f32 v5, 0.5, v5 :: v_dual_add_f32 v16, 1.0, v16
	v_mul_f32_e32 v5, v5, v16
	s_delay_alu instid0(VALU_DEP_1) | instskip(NEXT) | instid1(VALU_DEP_1)
	v_and_b32_e32 v16, 0x7f800000, v5
	v_cmp_ne_u32_e32 vcc_lo, 0x7f800000, v16
                                        ; implicit-def: $vgpr16
	s_and_saveexec_b32 s0, vcc_lo
	s_delay_alu instid0(SALU_CYCLE_1)
	s_xor_b32 s0, exec_lo, s0
; %bb.16:                               ;   in Loop: Header=BB43_3 Depth=1
	v_bfe_u32 v16, v5, 16, 1
	s_delay_alu instid0(VALU_DEP_1)
	v_add3_u32 v16, v5, v16, 0x7fff
                                        ; implicit-def: $vgpr5
; %bb.17:                               ;   in Loop: Header=BB43_3 Depth=1
	s_and_not1_saveexec_b32 s0, s0
; %bb.18:                               ;   in Loop: Header=BB43_3 Depth=1
	v_and_b32_e32 v16, 0xffff, v5
	v_or_b32_e32 v17, 0x10000, v5
	s_delay_alu instid0(VALU_DEP_2) | instskip(NEXT) | instid1(VALU_DEP_2)
	v_cmp_eq_u32_e32 vcc_lo, 0, v16
	v_cndmask_b32_e32 v16, v17, v5, vcc_lo
; %bb.19:                               ;   in Loop: Header=BB43_3 Depth=1
	s_or_b32 exec_lo, exec_lo, s0
	v_and_b32_e32 v5, 0xffff0000, v15
	s_waitcnt vmcnt(0)
	v_lshlrev_b32_e32 v15, 16, v1
	s_delay_alu instid0(VALU_DEP_1) | instskip(NEXT) | instid1(VALU_DEP_1)
	v_mul_f32_e32 v15, v15, v5
	v_and_b32_e32 v5, 0x7f800000, v15
	s_delay_alu instid0(VALU_DEP_1) | instskip(SKIP_1) | instid1(SALU_CYCLE_1)
	v_cmp_ne_u32_e32 vcc_lo, 0x7f800000, v5
                                        ; implicit-def: $vgpr5
	s_and_saveexec_b32 s0, vcc_lo
	s_xor_b32 s0, exec_lo, s0
; %bb.20:                               ;   in Loop: Header=BB43_3 Depth=1
	v_bfe_u32 v5, v15, 16, 1
	s_delay_alu instid0(VALU_DEP_1)
	v_add3_u32 v5, v15, v5, 0x7fff
                                        ; implicit-def: $vgpr15
; %bb.21:                               ;   in Loop: Header=BB43_3 Depth=1
	s_and_not1_saveexec_b32 s0, s0
; %bb.22:                               ;   in Loop: Header=BB43_3 Depth=1
	v_and_b32_e32 v5, 0xffff, v15
	v_or_b32_e32 v17, 0x10000, v15
	s_delay_alu instid0(VALU_DEP_2) | instskip(NEXT) | instid1(VALU_DEP_2)
	v_cmp_eq_u32_e32 vcc_lo, 0, v5
	v_cndmask_b32_e32 v5, v17, v15, vcc_lo
; %bb.23:                               ;   in Loop: Header=BB43_3 Depth=1
	s_or_b32 exec_lo, exec_lo, s0
	v_and_b32_e32 v15, 0xffff0000, v16
	v_and_b32_e32 v1, 0xffff0000, v1
	s_delay_alu instid0(VALU_DEP_1) | instskip(NEXT) | instid1(VALU_DEP_1)
	v_mul_f32_e32 v15, v1, v15
	v_and_b32_e32 v1, 0x7f800000, v15
	s_delay_alu instid0(VALU_DEP_1) | instskip(SKIP_1) | instid1(SALU_CYCLE_1)
	v_cmp_ne_u32_e32 vcc_lo, 0x7f800000, v1
                                        ; implicit-def: $vgpr1
	s_and_saveexec_b32 s0, vcc_lo
	s_xor_b32 s0, exec_lo, s0
; %bb.24:                               ;   in Loop: Header=BB43_3 Depth=1
	v_bfe_u32 v1, v15, 16, 1
	s_delay_alu instid0(VALU_DEP_1)
	v_add3_u32 v1, v15, v1, 0x7fff
                                        ; implicit-def: $vgpr15
; %bb.25:                               ;   in Loop: Header=BB43_3 Depth=1
	s_and_not1_saveexec_b32 s0, s0
; %bb.26:                               ;   in Loop: Header=BB43_3 Depth=1
	v_and_b32_e32 v1, 0xffff, v15
	v_or_b32_e32 v16, 0x10000, v15
	s_delay_alu instid0(VALU_DEP_2) | instskip(NEXT) | instid1(VALU_DEP_2)
	v_cmp_eq_u32_e32 vcc_lo, 0, v1
	v_cndmask_b32_e32 v1, v16, v15, vcc_lo
; %bb.27:                               ;   in Loop: Header=BB43_3 Depth=1
	s_or_b32 exec_lo, exec_lo, s0
	v_lshlrev_b32_e32 v15, 16, v6
                                        ; implicit-def: $vgpr18
	s_delay_alu instid0(VALU_DEP_1) | instskip(NEXT) | instid1(VALU_DEP_1)
	v_mul_f32_e32 v16, v15, v15
	v_mul_f32_e32 v16, v16, v15
	s_delay_alu instid0(VALU_DEP_1) | instskip(NEXT) | instid1(VALU_DEP_1)
	v_fmamk_f32 v16, v16, 0x3d372713, v15
	v_mul_f32_e32 v16, 0x3f4c422a, v16
	s_delay_alu instid0(VALU_DEP_1) | instskip(NEXT) | instid1(VALU_DEP_1)
	v_cmp_ngt_f32_e64 s0, 0x3f200000, |v16|
	s_and_saveexec_b32 s8, s0
	s_delay_alu instid0(SALU_CYCLE_1)
	s_xor_b32 s0, exec_lo, s8
	s_cbranch_execz .LBB43_29
; %bb.28:                               ;   in Loop: Header=BB43_3 Depth=1
	v_add_f32_e64 v17, |v16|, |v16|
	s_delay_alu instid0(VALU_DEP_1) | instskip(SKIP_1) | instid1(VALU_DEP_2)
	v_mul_f32_e32 v18, 0x3fb8aa3b, v17
	v_cmp_ngt_f32_e32 vcc_lo, 0xc2ce8ed0, v17
	v_rndne_f32_e32 v19, v18
	v_fma_f32 v20, 0x3fb8aa3b, v17, -v18
	s_delay_alu instid0(VALU_DEP_2) | instskip(NEXT) | instid1(VALU_DEP_2)
	v_sub_f32_e32 v18, v18, v19
	v_fmac_f32_e32 v20, 0x32a5705f, v17
	v_cvt_i32_f32_e32 v19, v19
	s_delay_alu instid0(VALU_DEP_2) | instskip(NEXT) | instid1(VALU_DEP_1)
	v_add_f32_e32 v18, v18, v20
	v_exp_f32_e32 v18, v18
	s_waitcnt_depctr 0xfff
	v_ldexp_f32 v18, v18, v19
	s_delay_alu instid0(VALU_DEP_1) | instskip(SKIP_1) | instid1(VALU_DEP_2)
	v_cndmask_b32_e32 v18, 0, v18, vcc_lo
	v_cmp_nlt_f32_e32 vcc_lo, 0x42b17218, v17
	v_cndmask_b32_e32 v17, 0x7f800000, v18, vcc_lo
	s_delay_alu instid0(VALU_DEP_1) | instskip(NEXT) | instid1(VALU_DEP_1)
	v_add_f32_e32 v17, 1.0, v17
	v_rcp_f32_e32 v17, v17
	s_waitcnt_depctr 0xfff
	v_fma_f32 v18, v17, -2.0, 1.0
.LBB43_29:                              ;   in Loop: Header=BB43_3 Depth=1
	s_and_not1_saveexec_b32 s0, s0
; %bb.30:                               ;   in Loop: Header=BB43_3 Depth=1
	v_mul_f32_e32 v17, v16, v16
	s_delay_alu instid0(VALU_DEP_1) | instskip(NEXT) | instid1(VALU_DEP_1)
	v_fmaak_f32 v18, s7, v17, 0x3ca908c9
	v_fmaak_f32 v18, v17, v18, 0xbd5c1c4e
	s_delay_alu instid0(VALU_DEP_1) | instskip(NEXT) | instid1(VALU_DEP_1)
	v_fmaak_f32 v18, v17, v18, 0x3e088382
	v_fmaak_f32 v18, v17, v18, 0xbeaaaa99
	s_delay_alu instid0(VALU_DEP_1) | instskip(NEXT) | instid1(VALU_DEP_1)
	v_mul_f32_e64 v18, |v16|, v18
	v_fma_f32 v18, v17, v18, |v16|
; %bb.31:                               ;   in Loop: Header=BB43_3 Depth=1
	s_or_b32 exec_lo, exec_lo, s0
	v_and_b32_e32 v6, 0xffff0000, v6
                                        ; implicit-def: $vgpr19
	s_delay_alu instid0(VALU_DEP_1) | instskip(NEXT) | instid1(VALU_DEP_1)
	v_mul_f32_e32 v17, v6, v6
	v_mul_f32_e32 v17, v17, v6
	s_delay_alu instid0(VALU_DEP_1) | instskip(NEXT) | instid1(VALU_DEP_1)
	v_fmamk_f32 v17, v17, 0x3d372713, v6
	v_mul_f32_e32 v17, 0x3f4c422a, v17
	s_delay_alu instid0(VALU_DEP_1) | instskip(NEXT) | instid1(VALU_DEP_1)
	v_cmp_ngt_f32_e64 s0, 0x3f200000, |v17|
	s_and_saveexec_b32 s8, s0
	s_delay_alu instid0(SALU_CYCLE_1)
	s_xor_b32 s0, exec_lo, s8
	s_cbranch_execz .LBB43_33
; %bb.32:                               ;   in Loop: Header=BB43_3 Depth=1
	v_add_f32_e64 v19, |v17|, |v17|
	s_delay_alu instid0(VALU_DEP_1) | instskip(SKIP_1) | instid1(VALU_DEP_2)
	v_mul_f32_e32 v20, 0x3fb8aa3b, v19
	v_cmp_ngt_f32_e32 vcc_lo, 0xc2ce8ed0, v19
	v_rndne_f32_e32 v21, v20
	v_fma_f32 v22, 0x3fb8aa3b, v19, -v20
	s_delay_alu instid0(VALU_DEP_2) | instskip(NEXT) | instid1(VALU_DEP_2)
	v_sub_f32_e32 v20, v20, v21
	v_fmac_f32_e32 v22, 0x32a5705f, v19
	v_cvt_i32_f32_e32 v21, v21
	s_delay_alu instid0(VALU_DEP_2) | instskip(NEXT) | instid1(VALU_DEP_1)
	v_add_f32_e32 v20, v20, v22
	v_exp_f32_e32 v20, v20
	s_waitcnt_depctr 0xfff
	v_ldexp_f32 v20, v20, v21
	s_delay_alu instid0(VALU_DEP_1) | instskip(SKIP_1) | instid1(VALU_DEP_2)
	v_cndmask_b32_e32 v20, 0, v20, vcc_lo
	v_cmp_nlt_f32_e32 vcc_lo, 0x42b17218, v19
	v_cndmask_b32_e32 v19, 0x7f800000, v20, vcc_lo
	s_delay_alu instid0(VALU_DEP_1) | instskip(NEXT) | instid1(VALU_DEP_1)
	v_add_f32_e32 v19, 1.0, v19
	v_rcp_f32_e32 v19, v19
	s_waitcnt_depctr 0xfff
	v_fma_f32 v19, v19, -2.0, 1.0
.LBB43_33:                              ;   in Loop: Header=BB43_3 Depth=1
	s_and_not1_saveexec_b32 s0, s0
; %bb.34:                               ;   in Loop: Header=BB43_3 Depth=1
	v_mul_f32_e32 v19, v17, v17
	s_delay_alu instid0(VALU_DEP_1) | instskip(NEXT) | instid1(VALU_DEP_1)
	v_fmaak_f32 v20, s7, v19, 0x3ca908c9
	v_fmaak_f32 v20, v19, v20, 0xbd5c1c4e
	s_delay_alu instid0(VALU_DEP_1) | instskip(NEXT) | instid1(VALU_DEP_1)
	v_fmaak_f32 v20, v19, v20, 0x3e088382
	v_fmaak_f32 v20, v19, v20, 0xbeaaaa99
	s_delay_alu instid0(VALU_DEP_1) | instskip(NEXT) | instid1(VALU_DEP_1)
	v_mul_f32_e64 v20, |v17|, v20
	v_fma_f32 v19, v19, v20, |v17|
; %bb.35:                               ;   in Loop: Header=BB43_3 Depth=1
	s_or_b32 exec_lo, exec_lo, s0
	v_bfi_b32 v16, 0x7fffffff, v18, v16
	s_delay_alu instid0(VALU_DEP_1) | instskip(NEXT) | instid1(VALU_DEP_1)
	v_dual_mul_f32 v15, 0.5, v15 :: v_dual_add_f32 v16, 1.0, v16
	v_mul_f32_e32 v16, v15, v16
	s_delay_alu instid0(VALU_DEP_1) | instskip(NEXT) | instid1(VALU_DEP_1)
	v_and_b32_e32 v15, 0x7f800000, v16
	v_cmp_ne_u32_e32 vcc_lo, 0x7f800000, v15
                                        ; implicit-def: $vgpr15
	s_and_saveexec_b32 s0, vcc_lo
	s_delay_alu instid0(SALU_CYCLE_1)
	s_xor_b32 s0, exec_lo, s0
; %bb.36:                               ;   in Loop: Header=BB43_3 Depth=1
	v_bfe_u32 v15, v16, 16, 1
	s_delay_alu instid0(VALU_DEP_1)
	v_add3_u32 v15, v16, v15, 0x7fff
                                        ; implicit-def: $vgpr16
; %bb.37:                               ;   in Loop: Header=BB43_3 Depth=1
	s_and_not1_saveexec_b32 s0, s0
; %bb.38:                               ;   in Loop: Header=BB43_3 Depth=1
	v_and_b32_e32 v15, 0xffff, v16
	v_or_b32_e32 v18, 0x10000, v16
	s_delay_alu instid0(VALU_DEP_2) | instskip(NEXT) | instid1(VALU_DEP_2)
	v_cmp_eq_u32_e32 vcc_lo, 0, v15
	v_cndmask_b32_e32 v15, v18, v16, vcc_lo
; %bb.39:                               ;   in Loop: Header=BB43_3 Depth=1
	s_or_b32 exec_lo, exec_lo, s0
	v_bfi_b32 v16, 0x7fffffff, v19, v17
	v_mul_f32_e32 v6, 0.5, v6
	s_delay_alu instid0(VALU_DEP_2) | instskip(NEXT) | instid1(VALU_DEP_1)
	v_add_f32_e32 v16, 1.0, v16
	v_mul_f32_e32 v6, v6, v16
	s_delay_alu instid0(VALU_DEP_1) | instskip(NEXT) | instid1(VALU_DEP_1)
	v_and_b32_e32 v16, 0x7f800000, v6
	v_cmp_ne_u32_e32 vcc_lo, 0x7f800000, v16
                                        ; implicit-def: $vgpr16
	s_and_saveexec_b32 s0, vcc_lo
	s_delay_alu instid0(SALU_CYCLE_1)
	s_xor_b32 s0, exec_lo, s0
; %bb.40:                               ;   in Loop: Header=BB43_3 Depth=1
	v_bfe_u32 v16, v6, 16, 1
	s_delay_alu instid0(VALU_DEP_1)
	v_add3_u32 v16, v6, v16, 0x7fff
                                        ; implicit-def: $vgpr6
; %bb.41:                               ;   in Loop: Header=BB43_3 Depth=1
	s_and_not1_saveexec_b32 s0, s0
; %bb.42:                               ;   in Loop: Header=BB43_3 Depth=1
	v_and_b32_e32 v16, 0xffff, v6
	v_or_b32_e32 v17, 0x10000, v6
	s_delay_alu instid0(VALU_DEP_2) | instskip(NEXT) | instid1(VALU_DEP_2)
	v_cmp_eq_u32_e32 vcc_lo, 0, v16
	v_cndmask_b32_e32 v16, v17, v6, vcc_lo
; %bb.43:                               ;   in Loop: Header=BB43_3 Depth=1
	s_or_b32 exec_lo, exec_lo, s0
	v_and_b32_e32 v6, 0xffff0000, v15
	v_lshlrev_b32_e32 v15, 16, v2
	s_delay_alu instid0(VALU_DEP_1) | instskip(NEXT) | instid1(VALU_DEP_1)
	v_mul_f32_e32 v15, v15, v6
	v_and_b32_e32 v6, 0x7f800000, v15
	s_delay_alu instid0(VALU_DEP_1) | instskip(SKIP_1) | instid1(SALU_CYCLE_1)
	v_cmp_ne_u32_e32 vcc_lo, 0x7f800000, v6
                                        ; implicit-def: $vgpr6
	s_and_saveexec_b32 s0, vcc_lo
	s_xor_b32 s0, exec_lo, s0
; %bb.44:                               ;   in Loop: Header=BB43_3 Depth=1
	v_bfe_u32 v6, v15, 16, 1
	s_delay_alu instid0(VALU_DEP_1)
	v_add3_u32 v6, v15, v6, 0x7fff
                                        ; implicit-def: $vgpr15
; %bb.45:                               ;   in Loop: Header=BB43_3 Depth=1
	s_and_not1_saveexec_b32 s0, s0
; %bb.46:                               ;   in Loop: Header=BB43_3 Depth=1
	v_and_b32_e32 v6, 0xffff, v15
	v_or_b32_e32 v17, 0x10000, v15
	s_delay_alu instid0(VALU_DEP_2) | instskip(NEXT) | instid1(VALU_DEP_2)
	v_cmp_eq_u32_e32 vcc_lo, 0, v6
	v_cndmask_b32_e32 v6, v17, v15, vcc_lo
; %bb.47:                               ;   in Loop: Header=BB43_3 Depth=1
	s_or_b32 exec_lo, exec_lo, s0
	v_and_b32_e32 v15, 0xffff0000, v16
	v_and_b32_e32 v2, 0xffff0000, v2
	s_delay_alu instid0(VALU_DEP_1) | instskip(NEXT) | instid1(VALU_DEP_1)
	v_mul_f32_e32 v15, v2, v15
	v_and_b32_e32 v2, 0x7f800000, v15
	s_delay_alu instid0(VALU_DEP_1) | instskip(SKIP_1) | instid1(SALU_CYCLE_1)
	v_cmp_ne_u32_e32 vcc_lo, 0x7f800000, v2
                                        ; implicit-def: $vgpr2
	s_and_saveexec_b32 s0, vcc_lo
	s_xor_b32 s0, exec_lo, s0
; %bb.48:                               ;   in Loop: Header=BB43_3 Depth=1
	v_bfe_u32 v2, v15, 16, 1
	s_delay_alu instid0(VALU_DEP_1)
	v_add3_u32 v2, v15, v2, 0x7fff
                                        ; implicit-def: $vgpr15
; %bb.49:                               ;   in Loop: Header=BB43_3 Depth=1
	s_and_not1_saveexec_b32 s0, s0
; %bb.50:                               ;   in Loop: Header=BB43_3 Depth=1
	v_and_b32_e32 v2, 0xffff, v15
	v_or_b32_e32 v16, 0x10000, v15
	s_delay_alu instid0(VALU_DEP_2) | instskip(NEXT) | instid1(VALU_DEP_2)
	v_cmp_eq_u32_e32 vcc_lo, 0, v2
	v_cndmask_b32_e32 v2, v16, v15, vcc_lo
; %bb.51:                               ;   in Loop: Header=BB43_3 Depth=1
	s_or_b32 exec_lo, exec_lo, s0
	v_lshlrev_b32_e32 v15, 16, v7
                                        ; implicit-def: $vgpr18
	s_delay_alu instid0(VALU_DEP_1) | instskip(NEXT) | instid1(VALU_DEP_1)
	v_mul_f32_e32 v16, v15, v15
	v_mul_f32_e32 v16, v16, v15
	s_delay_alu instid0(VALU_DEP_1) | instskip(NEXT) | instid1(VALU_DEP_1)
	v_fmamk_f32 v16, v16, 0x3d372713, v15
	v_mul_f32_e32 v16, 0x3f4c422a, v16
	s_delay_alu instid0(VALU_DEP_1) | instskip(NEXT) | instid1(VALU_DEP_1)
	v_cmp_ngt_f32_e64 s0, 0x3f200000, |v16|
	s_and_saveexec_b32 s8, s0
	s_delay_alu instid0(SALU_CYCLE_1)
	s_xor_b32 s0, exec_lo, s8
	s_cbranch_execz .LBB43_53
; %bb.52:                               ;   in Loop: Header=BB43_3 Depth=1
	v_add_f32_e64 v17, |v16|, |v16|
	s_delay_alu instid0(VALU_DEP_1) | instskip(SKIP_1) | instid1(VALU_DEP_2)
	v_mul_f32_e32 v18, 0x3fb8aa3b, v17
	v_cmp_ngt_f32_e32 vcc_lo, 0xc2ce8ed0, v17
	v_rndne_f32_e32 v19, v18
	v_fma_f32 v20, 0x3fb8aa3b, v17, -v18
	s_delay_alu instid0(VALU_DEP_2) | instskip(NEXT) | instid1(VALU_DEP_2)
	v_sub_f32_e32 v18, v18, v19
	v_fmac_f32_e32 v20, 0x32a5705f, v17
	v_cvt_i32_f32_e32 v19, v19
	s_delay_alu instid0(VALU_DEP_2) | instskip(NEXT) | instid1(VALU_DEP_1)
	v_add_f32_e32 v18, v18, v20
	v_exp_f32_e32 v18, v18
	s_waitcnt_depctr 0xfff
	v_ldexp_f32 v18, v18, v19
	s_delay_alu instid0(VALU_DEP_1) | instskip(SKIP_1) | instid1(VALU_DEP_2)
	v_cndmask_b32_e32 v18, 0, v18, vcc_lo
	v_cmp_nlt_f32_e32 vcc_lo, 0x42b17218, v17
	v_cndmask_b32_e32 v17, 0x7f800000, v18, vcc_lo
	s_delay_alu instid0(VALU_DEP_1) | instskip(NEXT) | instid1(VALU_DEP_1)
	v_add_f32_e32 v17, 1.0, v17
	v_rcp_f32_e32 v17, v17
	s_waitcnt_depctr 0xfff
	v_fma_f32 v18, v17, -2.0, 1.0
.LBB43_53:                              ;   in Loop: Header=BB43_3 Depth=1
	s_and_not1_saveexec_b32 s0, s0
; %bb.54:                               ;   in Loop: Header=BB43_3 Depth=1
	v_mul_f32_e32 v17, v16, v16
	s_delay_alu instid0(VALU_DEP_1) | instskip(NEXT) | instid1(VALU_DEP_1)
	v_fmaak_f32 v18, s7, v17, 0x3ca908c9
	v_fmaak_f32 v18, v17, v18, 0xbd5c1c4e
	s_delay_alu instid0(VALU_DEP_1) | instskip(NEXT) | instid1(VALU_DEP_1)
	v_fmaak_f32 v18, v17, v18, 0x3e088382
	v_fmaak_f32 v18, v17, v18, 0xbeaaaa99
	s_delay_alu instid0(VALU_DEP_1) | instskip(NEXT) | instid1(VALU_DEP_1)
	v_mul_f32_e64 v18, |v16|, v18
	v_fma_f32 v18, v17, v18, |v16|
; %bb.55:                               ;   in Loop: Header=BB43_3 Depth=1
	s_or_b32 exec_lo, exec_lo, s0
	v_and_b32_e32 v7, 0xffff0000, v7
                                        ; implicit-def: $vgpr19
	s_delay_alu instid0(VALU_DEP_1) | instskip(NEXT) | instid1(VALU_DEP_1)
	v_mul_f32_e32 v17, v7, v7
	v_mul_f32_e32 v17, v17, v7
	s_delay_alu instid0(VALU_DEP_1) | instskip(NEXT) | instid1(VALU_DEP_1)
	v_fmamk_f32 v17, v17, 0x3d372713, v7
	v_mul_f32_e32 v17, 0x3f4c422a, v17
	s_delay_alu instid0(VALU_DEP_1) | instskip(NEXT) | instid1(VALU_DEP_1)
	v_cmp_ngt_f32_e64 s0, 0x3f200000, |v17|
	s_and_saveexec_b32 s8, s0
	s_delay_alu instid0(SALU_CYCLE_1)
	s_xor_b32 s0, exec_lo, s8
	s_cbranch_execz .LBB43_57
; %bb.56:                               ;   in Loop: Header=BB43_3 Depth=1
	v_add_f32_e64 v19, |v17|, |v17|
	s_delay_alu instid0(VALU_DEP_1) | instskip(SKIP_1) | instid1(VALU_DEP_2)
	v_mul_f32_e32 v20, 0x3fb8aa3b, v19
	v_cmp_ngt_f32_e32 vcc_lo, 0xc2ce8ed0, v19
	v_rndne_f32_e32 v21, v20
	v_fma_f32 v22, 0x3fb8aa3b, v19, -v20
	s_delay_alu instid0(VALU_DEP_2) | instskip(NEXT) | instid1(VALU_DEP_2)
	v_sub_f32_e32 v20, v20, v21
	v_fmac_f32_e32 v22, 0x32a5705f, v19
	v_cvt_i32_f32_e32 v21, v21
	s_delay_alu instid0(VALU_DEP_2) | instskip(NEXT) | instid1(VALU_DEP_1)
	v_add_f32_e32 v20, v20, v22
	v_exp_f32_e32 v20, v20
	s_waitcnt_depctr 0xfff
	v_ldexp_f32 v20, v20, v21
	s_delay_alu instid0(VALU_DEP_1) | instskip(SKIP_1) | instid1(VALU_DEP_2)
	v_cndmask_b32_e32 v20, 0, v20, vcc_lo
	v_cmp_nlt_f32_e32 vcc_lo, 0x42b17218, v19
	v_cndmask_b32_e32 v19, 0x7f800000, v20, vcc_lo
	s_delay_alu instid0(VALU_DEP_1) | instskip(NEXT) | instid1(VALU_DEP_1)
	v_add_f32_e32 v19, 1.0, v19
	v_rcp_f32_e32 v19, v19
	s_waitcnt_depctr 0xfff
	v_fma_f32 v19, v19, -2.0, 1.0
.LBB43_57:                              ;   in Loop: Header=BB43_3 Depth=1
	s_and_not1_saveexec_b32 s0, s0
; %bb.58:                               ;   in Loop: Header=BB43_3 Depth=1
	v_mul_f32_e32 v19, v17, v17
	s_delay_alu instid0(VALU_DEP_1) | instskip(NEXT) | instid1(VALU_DEP_1)
	v_fmaak_f32 v20, s7, v19, 0x3ca908c9
	v_fmaak_f32 v20, v19, v20, 0xbd5c1c4e
	s_delay_alu instid0(VALU_DEP_1) | instskip(NEXT) | instid1(VALU_DEP_1)
	v_fmaak_f32 v20, v19, v20, 0x3e088382
	v_fmaak_f32 v20, v19, v20, 0xbeaaaa99
	s_delay_alu instid0(VALU_DEP_1) | instskip(NEXT) | instid1(VALU_DEP_1)
	v_mul_f32_e64 v20, |v17|, v20
	v_fma_f32 v19, v19, v20, |v17|
; %bb.59:                               ;   in Loop: Header=BB43_3 Depth=1
	s_or_b32 exec_lo, exec_lo, s0
	v_bfi_b32 v16, 0x7fffffff, v18, v16
	s_delay_alu instid0(VALU_DEP_1) | instskip(NEXT) | instid1(VALU_DEP_1)
	v_dual_mul_f32 v15, 0.5, v15 :: v_dual_add_f32 v16, 1.0, v16
	v_mul_f32_e32 v16, v15, v16
	s_delay_alu instid0(VALU_DEP_1) | instskip(NEXT) | instid1(VALU_DEP_1)
	v_and_b32_e32 v15, 0x7f800000, v16
	v_cmp_ne_u32_e32 vcc_lo, 0x7f800000, v15
                                        ; implicit-def: $vgpr15
	s_and_saveexec_b32 s0, vcc_lo
	s_delay_alu instid0(SALU_CYCLE_1)
	s_xor_b32 s0, exec_lo, s0
; %bb.60:                               ;   in Loop: Header=BB43_3 Depth=1
	v_bfe_u32 v15, v16, 16, 1
	s_delay_alu instid0(VALU_DEP_1)
	v_add3_u32 v15, v16, v15, 0x7fff
                                        ; implicit-def: $vgpr16
; %bb.61:                               ;   in Loop: Header=BB43_3 Depth=1
	s_and_not1_saveexec_b32 s0, s0
; %bb.62:                               ;   in Loop: Header=BB43_3 Depth=1
	v_and_b32_e32 v15, 0xffff, v16
	v_or_b32_e32 v18, 0x10000, v16
	s_delay_alu instid0(VALU_DEP_2) | instskip(NEXT) | instid1(VALU_DEP_2)
	v_cmp_eq_u32_e32 vcc_lo, 0, v15
	v_cndmask_b32_e32 v15, v18, v16, vcc_lo
; %bb.63:                               ;   in Loop: Header=BB43_3 Depth=1
	s_or_b32 exec_lo, exec_lo, s0
	v_bfi_b32 v16, 0x7fffffff, v19, v17
	s_delay_alu instid0(VALU_DEP_1) | instskip(NEXT) | instid1(VALU_DEP_1)
	v_dual_mul_f32 v7, 0.5, v7 :: v_dual_add_f32 v16, 1.0, v16
	v_mul_f32_e32 v7, v7, v16
	s_delay_alu instid0(VALU_DEP_1) | instskip(NEXT) | instid1(VALU_DEP_1)
	v_and_b32_e32 v16, 0x7f800000, v7
	v_cmp_ne_u32_e32 vcc_lo, 0x7f800000, v16
                                        ; implicit-def: $vgpr16
	s_and_saveexec_b32 s0, vcc_lo
	s_delay_alu instid0(SALU_CYCLE_1)
	s_xor_b32 s0, exec_lo, s0
; %bb.64:                               ;   in Loop: Header=BB43_3 Depth=1
	v_bfe_u32 v16, v7, 16, 1
	s_delay_alu instid0(VALU_DEP_1)
	v_add3_u32 v16, v7, v16, 0x7fff
                                        ; implicit-def: $vgpr7
; %bb.65:                               ;   in Loop: Header=BB43_3 Depth=1
	s_and_not1_saveexec_b32 s0, s0
; %bb.66:                               ;   in Loop: Header=BB43_3 Depth=1
	v_and_b32_e32 v16, 0xffff, v7
	v_or_b32_e32 v17, 0x10000, v7
	s_delay_alu instid0(VALU_DEP_2) | instskip(NEXT) | instid1(VALU_DEP_2)
	v_cmp_eq_u32_e32 vcc_lo, 0, v16
	v_cndmask_b32_e32 v16, v17, v7, vcc_lo
; %bb.67:                               ;   in Loop: Header=BB43_3 Depth=1
	s_or_b32 exec_lo, exec_lo, s0
	v_and_b32_e32 v7, 0xffff0000, v15
	v_lshlrev_b32_e32 v15, 16, v3
	s_delay_alu instid0(VALU_DEP_1) | instskip(NEXT) | instid1(VALU_DEP_1)
	v_mul_f32_e32 v15, v15, v7
	v_and_b32_e32 v7, 0x7f800000, v15
	s_delay_alu instid0(VALU_DEP_1) | instskip(SKIP_1) | instid1(SALU_CYCLE_1)
	v_cmp_ne_u32_e32 vcc_lo, 0x7f800000, v7
                                        ; implicit-def: $vgpr7
	s_and_saveexec_b32 s0, vcc_lo
	s_xor_b32 s0, exec_lo, s0
; %bb.68:                               ;   in Loop: Header=BB43_3 Depth=1
	v_bfe_u32 v7, v15, 16, 1
	s_delay_alu instid0(VALU_DEP_1)
	v_add3_u32 v7, v15, v7, 0x7fff
                                        ; implicit-def: $vgpr15
; %bb.69:                               ;   in Loop: Header=BB43_3 Depth=1
	s_and_not1_saveexec_b32 s0, s0
; %bb.70:                               ;   in Loop: Header=BB43_3 Depth=1
	v_and_b32_e32 v7, 0xffff, v15
	v_or_b32_e32 v17, 0x10000, v15
	s_delay_alu instid0(VALU_DEP_2) | instskip(NEXT) | instid1(VALU_DEP_2)
	v_cmp_eq_u32_e32 vcc_lo, 0, v7
	v_cndmask_b32_e32 v7, v17, v15, vcc_lo
; %bb.71:                               ;   in Loop: Header=BB43_3 Depth=1
	s_or_b32 exec_lo, exec_lo, s0
	v_and_b32_e32 v15, 0xffff0000, v16
	v_and_b32_e32 v3, 0xffff0000, v3
	s_delay_alu instid0(VALU_DEP_1) | instskip(NEXT) | instid1(VALU_DEP_1)
	v_mul_f32_e32 v15, v3, v15
	v_and_b32_e32 v3, 0x7f800000, v15
	s_delay_alu instid0(VALU_DEP_1) | instskip(SKIP_1) | instid1(SALU_CYCLE_1)
	v_cmp_ne_u32_e32 vcc_lo, 0x7f800000, v3
                                        ; implicit-def: $vgpr3
	s_and_saveexec_b32 s0, vcc_lo
	s_xor_b32 s0, exec_lo, s0
; %bb.72:                               ;   in Loop: Header=BB43_3 Depth=1
	v_bfe_u32 v3, v15, 16, 1
	s_delay_alu instid0(VALU_DEP_1)
	v_add3_u32 v3, v15, v3, 0x7fff
                                        ; implicit-def: $vgpr15
; %bb.73:                               ;   in Loop: Header=BB43_3 Depth=1
	s_and_not1_saveexec_b32 s0, s0
; %bb.74:                               ;   in Loop: Header=BB43_3 Depth=1
	v_and_b32_e32 v3, 0xffff, v15
	v_or_b32_e32 v16, 0x10000, v15
	s_delay_alu instid0(VALU_DEP_2) | instskip(NEXT) | instid1(VALU_DEP_2)
	v_cmp_eq_u32_e32 vcc_lo, 0, v3
	v_cndmask_b32_e32 v3, v16, v15, vcc_lo
; %bb.75:                               ;   in Loop: Header=BB43_3 Depth=1
	s_or_b32 exec_lo, exec_lo, s0
	v_lshlrev_b32_e32 v15, 16, v8
                                        ; implicit-def: $vgpr18
	s_delay_alu instid0(VALU_DEP_1) | instskip(NEXT) | instid1(VALU_DEP_1)
	v_mul_f32_e32 v16, v15, v15
	v_mul_f32_e32 v16, v16, v15
	s_delay_alu instid0(VALU_DEP_1) | instskip(NEXT) | instid1(VALU_DEP_1)
	v_fmamk_f32 v16, v16, 0x3d372713, v15
	v_mul_f32_e32 v16, 0x3f4c422a, v16
	s_delay_alu instid0(VALU_DEP_1) | instskip(NEXT) | instid1(VALU_DEP_1)
	v_cmp_ngt_f32_e64 s0, 0x3f200000, |v16|
	s_and_saveexec_b32 s8, s0
	s_delay_alu instid0(SALU_CYCLE_1)
	s_xor_b32 s0, exec_lo, s8
	s_cbranch_execz .LBB43_77
; %bb.76:                               ;   in Loop: Header=BB43_3 Depth=1
	v_add_f32_e64 v17, |v16|, |v16|
	s_delay_alu instid0(VALU_DEP_1) | instskip(SKIP_1) | instid1(VALU_DEP_2)
	v_mul_f32_e32 v18, 0x3fb8aa3b, v17
	v_cmp_ngt_f32_e32 vcc_lo, 0xc2ce8ed0, v17
	v_rndne_f32_e32 v19, v18
	v_fma_f32 v20, 0x3fb8aa3b, v17, -v18
	s_delay_alu instid0(VALU_DEP_2) | instskip(NEXT) | instid1(VALU_DEP_2)
	v_sub_f32_e32 v18, v18, v19
	v_fmac_f32_e32 v20, 0x32a5705f, v17
	v_cvt_i32_f32_e32 v19, v19
	s_delay_alu instid0(VALU_DEP_2) | instskip(NEXT) | instid1(VALU_DEP_1)
	v_add_f32_e32 v18, v18, v20
	v_exp_f32_e32 v18, v18
	s_waitcnt_depctr 0xfff
	v_ldexp_f32 v18, v18, v19
	s_delay_alu instid0(VALU_DEP_1) | instskip(SKIP_1) | instid1(VALU_DEP_2)
	v_cndmask_b32_e32 v18, 0, v18, vcc_lo
	v_cmp_nlt_f32_e32 vcc_lo, 0x42b17218, v17
	v_cndmask_b32_e32 v17, 0x7f800000, v18, vcc_lo
	s_delay_alu instid0(VALU_DEP_1) | instskip(NEXT) | instid1(VALU_DEP_1)
	v_add_f32_e32 v17, 1.0, v17
	v_rcp_f32_e32 v17, v17
	s_waitcnt_depctr 0xfff
	v_fma_f32 v18, v17, -2.0, 1.0
.LBB43_77:                              ;   in Loop: Header=BB43_3 Depth=1
	s_and_not1_saveexec_b32 s0, s0
; %bb.78:                               ;   in Loop: Header=BB43_3 Depth=1
	v_mul_f32_e32 v17, v16, v16
	s_delay_alu instid0(VALU_DEP_1) | instskip(NEXT) | instid1(VALU_DEP_1)
	v_fmaak_f32 v18, s7, v17, 0x3ca908c9
	v_fmaak_f32 v18, v17, v18, 0xbd5c1c4e
	s_delay_alu instid0(VALU_DEP_1) | instskip(NEXT) | instid1(VALU_DEP_1)
	v_fmaak_f32 v18, v17, v18, 0x3e088382
	v_fmaak_f32 v18, v17, v18, 0xbeaaaa99
	s_delay_alu instid0(VALU_DEP_1) | instskip(NEXT) | instid1(VALU_DEP_1)
	v_mul_f32_e64 v18, |v16|, v18
	v_fma_f32 v18, v17, v18, |v16|
; %bb.79:                               ;   in Loop: Header=BB43_3 Depth=1
	s_or_b32 exec_lo, exec_lo, s0
	v_and_b32_e32 v8, 0xffff0000, v8
                                        ; implicit-def: $vgpr19
	s_delay_alu instid0(VALU_DEP_1) | instskip(NEXT) | instid1(VALU_DEP_1)
	v_mul_f32_e32 v17, v8, v8
	v_mul_f32_e32 v17, v17, v8
	s_delay_alu instid0(VALU_DEP_1) | instskip(NEXT) | instid1(VALU_DEP_1)
	v_fmamk_f32 v17, v17, 0x3d372713, v8
	v_mul_f32_e32 v17, 0x3f4c422a, v17
	s_delay_alu instid0(VALU_DEP_1) | instskip(NEXT) | instid1(VALU_DEP_1)
	v_cmp_ngt_f32_e64 s0, 0x3f200000, |v17|
	s_and_saveexec_b32 s8, s0
	s_delay_alu instid0(SALU_CYCLE_1)
	s_xor_b32 s0, exec_lo, s8
	s_cbranch_execz .LBB43_81
; %bb.80:                               ;   in Loop: Header=BB43_3 Depth=1
	v_add_f32_e64 v19, |v17|, |v17|
	s_delay_alu instid0(VALU_DEP_1) | instskip(SKIP_1) | instid1(VALU_DEP_2)
	v_mul_f32_e32 v20, 0x3fb8aa3b, v19
	v_cmp_ngt_f32_e32 vcc_lo, 0xc2ce8ed0, v19
	v_rndne_f32_e32 v21, v20
	v_fma_f32 v22, 0x3fb8aa3b, v19, -v20
	s_delay_alu instid0(VALU_DEP_2) | instskip(NEXT) | instid1(VALU_DEP_2)
	v_sub_f32_e32 v20, v20, v21
	v_fmac_f32_e32 v22, 0x32a5705f, v19
	v_cvt_i32_f32_e32 v21, v21
	s_delay_alu instid0(VALU_DEP_2) | instskip(NEXT) | instid1(VALU_DEP_1)
	v_add_f32_e32 v20, v20, v22
	v_exp_f32_e32 v20, v20
	s_waitcnt_depctr 0xfff
	v_ldexp_f32 v20, v20, v21
	s_delay_alu instid0(VALU_DEP_1) | instskip(SKIP_1) | instid1(VALU_DEP_2)
	v_cndmask_b32_e32 v20, 0, v20, vcc_lo
	v_cmp_nlt_f32_e32 vcc_lo, 0x42b17218, v19
	v_cndmask_b32_e32 v19, 0x7f800000, v20, vcc_lo
	s_delay_alu instid0(VALU_DEP_1) | instskip(NEXT) | instid1(VALU_DEP_1)
	v_add_f32_e32 v19, 1.0, v19
	v_rcp_f32_e32 v19, v19
	s_waitcnt_depctr 0xfff
	v_fma_f32 v19, v19, -2.0, 1.0
.LBB43_81:                              ;   in Loop: Header=BB43_3 Depth=1
	s_and_not1_saveexec_b32 s0, s0
; %bb.82:                               ;   in Loop: Header=BB43_3 Depth=1
	v_mul_f32_e32 v19, v17, v17
	s_delay_alu instid0(VALU_DEP_1) | instskip(NEXT) | instid1(VALU_DEP_1)
	v_fmaak_f32 v20, s7, v19, 0x3ca908c9
	v_fmaak_f32 v20, v19, v20, 0xbd5c1c4e
	s_delay_alu instid0(VALU_DEP_1) | instskip(NEXT) | instid1(VALU_DEP_1)
	v_fmaak_f32 v20, v19, v20, 0x3e088382
	v_fmaak_f32 v20, v19, v20, 0xbeaaaa99
	s_delay_alu instid0(VALU_DEP_1) | instskip(NEXT) | instid1(VALU_DEP_1)
	v_mul_f32_e64 v20, |v17|, v20
	v_fma_f32 v19, v19, v20, |v17|
; %bb.83:                               ;   in Loop: Header=BB43_3 Depth=1
	s_or_b32 exec_lo, exec_lo, s0
	v_bfi_b32 v16, 0x7fffffff, v18, v16
	s_delay_alu instid0(VALU_DEP_1) | instskip(NEXT) | instid1(VALU_DEP_1)
	v_dual_mul_f32 v15, 0.5, v15 :: v_dual_add_f32 v16, 1.0, v16
	v_mul_f32_e32 v16, v15, v16
	s_delay_alu instid0(VALU_DEP_1) | instskip(NEXT) | instid1(VALU_DEP_1)
	v_and_b32_e32 v15, 0x7f800000, v16
	v_cmp_ne_u32_e32 vcc_lo, 0x7f800000, v15
                                        ; implicit-def: $vgpr15
	s_and_saveexec_b32 s0, vcc_lo
	s_delay_alu instid0(SALU_CYCLE_1)
	s_xor_b32 s0, exec_lo, s0
; %bb.84:                               ;   in Loop: Header=BB43_3 Depth=1
	v_bfe_u32 v15, v16, 16, 1
	s_delay_alu instid0(VALU_DEP_1)
	v_add3_u32 v15, v16, v15, 0x7fff
                                        ; implicit-def: $vgpr16
; %bb.85:                               ;   in Loop: Header=BB43_3 Depth=1
	s_and_not1_saveexec_b32 s0, s0
; %bb.86:                               ;   in Loop: Header=BB43_3 Depth=1
	v_and_b32_e32 v15, 0xffff, v16
	v_or_b32_e32 v18, 0x10000, v16
	s_delay_alu instid0(VALU_DEP_2) | instskip(NEXT) | instid1(VALU_DEP_2)
	v_cmp_eq_u32_e32 vcc_lo, 0, v15
	v_cndmask_b32_e32 v15, v18, v16, vcc_lo
; %bb.87:                               ;   in Loop: Header=BB43_3 Depth=1
	s_or_b32 exec_lo, exec_lo, s0
	v_bfi_b32 v16, 0x7fffffff, v19, v17
	v_mul_f32_e32 v8, 0.5, v8
	s_delay_alu instid0(VALU_DEP_2) | instskip(NEXT) | instid1(VALU_DEP_1)
	v_add_f32_e32 v16, 1.0, v16
	v_mul_f32_e32 v8, v8, v16
	s_delay_alu instid0(VALU_DEP_1) | instskip(NEXT) | instid1(VALU_DEP_1)
	v_and_b32_e32 v16, 0x7f800000, v8
	v_cmp_ne_u32_e32 vcc_lo, 0x7f800000, v16
                                        ; implicit-def: $vgpr16
	s_and_saveexec_b32 s0, vcc_lo
	s_delay_alu instid0(SALU_CYCLE_1)
	s_xor_b32 s0, exec_lo, s0
; %bb.88:                               ;   in Loop: Header=BB43_3 Depth=1
	v_bfe_u32 v16, v8, 16, 1
	s_delay_alu instid0(VALU_DEP_1)
	v_add3_u32 v16, v8, v16, 0x7fff
                                        ; implicit-def: $vgpr8
; %bb.89:                               ;   in Loop: Header=BB43_3 Depth=1
	s_and_not1_saveexec_b32 s0, s0
; %bb.90:                               ;   in Loop: Header=BB43_3 Depth=1
	v_and_b32_e32 v16, 0xffff, v8
	v_or_b32_e32 v17, 0x10000, v8
	s_delay_alu instid0(VALU_DEP_2) | instskip(NEXT) | instid1(VALU_DEP_2)
	v_cmp_eq_u32_e32 vcc_lo, 0, v16
	v_cndmask_b32_e32 v16, v17, v8, vcc_lo
; %bb.91:                               ;   in Loop: Header=BB43_3 Depth=1
	s_or_b32 exec_lo, exec_lo, s0
	v_and_b32_e32 v8, 0xffff0000, v15
	v_lshlrev_b32_e32 v15, 16, v4
	s_delay_alu instid0(VALU_DEP_1) | instskip(NEXT) | instid1(VALU_DEP_1)
	v_mul_f32_e32 v15, v15, v8
	v_and_b32_e32 v8, 0x7f800000, v15
	s_delay_alu instid0(VALU_DEP_1) | instskip(SKIP_1) | instid1(SALU_CYCLE_1)
	v_cmp_ne_u32_e32 vcc_lo, 0x7f800000, v8
                                        ; implicit-def: $vgpr8
	s_and_saveexec_b32 s0, vcc_lo
	s_xor_b32 s0, exec_lo, s0
; %bb.92:                               ;   in Loop: Header=BB43_3 Depth=1
	v_bfe_u32 v8, v15, 16, 1
	s_delay_alu instid0(VALU_DEP_1)
	v_add3_u32 v8, v15, v8, 0x7fff
                                        ; implicit-def: $vgpr15
; %bb.93:                               ;   in Loop: Header=BB43_3 Depth=1
	s_and_not1_saveexec_b32 s0, s0
; %bb.94:                               ;   in Loop: Header=BB43_3 Depth=1
	v_and_b32_e32 v8, 0xffff, v15
	v_or_b32_e32 v17, 0x10000, v15
	s_delay_alu instid0(VALU_DEP_2) | instskip(NEXT) | instid1(VALU_DEP_2)
	v_cmp_eq_u32_e32 vcc_lo, 0, v8
	v_cndmask_b32_e32 v8, v17, v15, vcc_lo
; %bb.95:                               ;   in Loop: Header=BB43_3 Depth=1
	s_or_b32 exec_lo, exec_lo, s0
	v_and_b32_e32 v15, 0xffff0000, v16
	v_and_b32_e32 v4, 0xffff0000, v4
	s_delay_alu instid0(VALU_DEP_1) | instskip(NEXT) | instid1(VALU_DEP_1)
	v_mul_f32_e32 v15, v4, v15
	v_and_b32_e32 v4, 0x7f800000, v15
	s_delay_alu instid0(VALU_DEP_1) | instskip(SKIP_1) | instid1(SALU_CYCLE_1)
	v_cmp_ne_u32_e32 vcc_lo, 0x7f800000, v4
                                        ; implicit-def: $vgpr4
	s_and_saveexec_b32 s0, vcc_lo
	s_xor_b32 s0, exec_lo, s0
; %bb.96:                               ;   in Loop: Header=BB43_3 Depth=1
	v_bfe_u32 v4, v15, 16, 1
	s_delay_alu instid0(VALU_DEP_1)
	v_add3_u32 v4, v15, v4, 0x7fff
                                        ; implicit-def: $vgpr15
; %bb.97:                               ;   in Loop: Header=BB43_3 Depth=1
	s_and_not1_saveexec_b32 s0, s0
	s_cbranch_execz .LBB43_2
; %bb.98:                               ;   in Loop: Header=BB43_3 Depth=1
	v_and_b32_e32 v4, 0xffff, v15
	v_or_b32_e32 v16, 0x10000, v15
	s_delay_alu instid0(VALU_DEP_2) | instskip(NEXT) | instid1(VALU_DEP_2)
	v_cmp_eq_u32_e32 vcc_lo, 0, v4
	v_cndmask_b32_e32 v4, v16, v15, vcc_lo
	s_branch .LBB43_2
.LBB43_99:
	s_nop 0
	s_sendmsg sendmsg(MSG_DEALLOC_VGPRS)
	s_endpgm
	.section	.rodata,"a",@progbits
	.p2align	6, 0x0
	.amdhsa_kernel _ZN4vllm18act_and_mul_kernelIN3c108BFloat16E15__hip_bfloat162TnPFT_RKS4_EXadL_ZNS_16gelu_tanh_kernelIS2_EES4_S6_EETnPFT0_RKSA_EXadL_ZNS_23packed_gelu_tanh_kernelIS3_EES4_S6_EELb1ELb1ELb0ELb0EEEvPS4_PS5_if
		.amdhsa_group_segment_fixed_size 0
		.amdhsa_private_segment_fixed_size 0
		.amdhsa_kernarg_size 280
		.amdhsa_user_sgpr_count 15
		.amdhsa_user_sgpr_dispatch_ptr 0
		.amdhsa_user_sgpr_queue_ptr 0
		.amdhsa_user_sgpr_kernarg_segment_ptr 1
		.amdhsa_user_sgpr_dispatch_id 0
		.amdhsa_user_sgpr_private_segment_size 0
		.amdhsa_wavefront_size32 1
		.amdhsa_uses_dynamic_stack 0
		.amdhsa_enable_private_segment 0
		.amdhsa_system_sgpr_workgroup_id_x 1
		.amdhsa_system_sgpr_workgroup_id_y 0
		.amdhsa_system_sgpr_workgroup_id_z 0
		.amdhsa_system_sgpr_workgroup_info 0
		.amdhsa_system_vgpr_workitem_id 0
		.amdhsa_next_free_vgpr 23
		.amdhsa_next_free_sgpr 16
		.amdhsa_reserve_vcc 1
		.amdhsa_float_round_mode_32 0
		.amdhsa_float_round_mode_16_64 0
		.amdhsa_float_denorm_mode_32 3
		.amdhsa_float_denorm_mode_16_64 3
		.amdhsa_dx10_clamp 1
		.amdhsa_ieee_mode 1
		.amdhsa_fp16_overflow 0
		.amdhsa_workgroup_processor_mode 1
		.amdhsa_memory_ordered 1
		.amdhsa_forward_progress 0
		.amdhsa_shared_vgpr_count 0
		.amdhsa_exception_fp_ieee_invalid_op 0
		.amdhsa_exception_fp_denorm_src 0
		.amdhsa_exception_fp_ieee_div_zero 0
		.amdhsa_exception_fp_ieee_overflow 0
		.amdhsa_exception_fp_ieee_underflow 0
		.amdhsa_exception_fp_ieee_inexact 0
		.amdhsa_exception_int_div_zero 0
	.end_amdhsa_kernel
	.section	.text._ZN4vllm18act_and_mul_kernelIN3c108BFloat16E15__hip_bfloat162TnPFT_RKS4_EXadL_ZNS_16gelu_tanh_kernelIS2_EES4_S6_EETnPFT0_RKSA_EXadL_ZNS_23packed_gelu_tanh_kernelIS3_EES4_S6_EELb1ELb1ELb0ELb0EEEvPS4_PS5_if,"axG",@progbits,_ZN4vllm18act_and_mul_kernelIN3c108BFloat16E15__hip_bfloat162TnPFT_RKS4_EXadL_ZNS_16gelu_tanh_kernelIS2_EES4_S6_EETnPFT0_RKSA_EXadL_ZNS_23packed_gelu_tanh_kernelIS3_EES4_S6_EELb1ELb1ELb0ELb0EEEvPS4_PS5_if,comdat
.Lfunc_end43:
	.size	_ZN4vllm18act_and_mul_kernelIN3c108BFloat16E15__hip_bfloat162TnPFT_RKS4_EXadL_ZNS_16gelu_tanh_kernelIS2_EES4_S6_EETnPFT0_RKSA_EXadL_ZNS_23packed_gelu_tanh_kernelIS3_EES4_S6_EELb1ELb1ELb0ELb0EEEvPS4_PS5_if, .Lfunc_end43-_ZN4vllm18act_and_mul_kernelIN3c108BFloat16E15__hip_bfloat162TnPFT_RKS4_EXadL_ZNS_16gelu_tanh_kernelIS2_EES4_S6_EETnPFT0_RKSA_EXadL_ZNS_23packed_gelu_tanh_kernelIS3_EES4_S6_EELb1ELb1ELb0ELb0EEEvPS4_PS5_if
                                        ; -- End function
	.section	.AMDGPU.csdata,"",@progbits
; Kernel info:
; codeLenInByte = 4432
; NumSgprs: 18
; NumVgprs: 23
; ScratchSize: 0
; MemoryBound: 0
; FloatMode: 240
; IeeeMode: 1
; LDSByteSize: 0 bytes/workgroup (compile time only)
; SGPRBlocks: 2
; VGPRBlocks: 2
; NumSGPRsForWavesPerEU: 18
; NumVGPRsForWavesPerEU: 23
; Occupancy: 16
; WaveLimiterHint : 0
; COMPUTE_PGM_RSRC2:SCRATCH_EN: 0
; COMPUTE_PGM_RSRC2:USER_SGPR: 15
; COMPUTE_PGM_RSRC2:TRAP_HANDLER: 0
; COMPUTE_PGM_RSRC2:TGID_X_EN: 1
; COMPUTE_PGM_RSRC2:TGID_Y_EN: 0
; COMPUTE_PGM_RSRC2:TGID_Z_EN: 0
; COMPUTE_PGM_RSRC2:TIDIG_COMP_CNT: 0
	.section	.text._ZN4vllm18act_and_mul_kernelIf15HIP_vector_typeIfLj2EETnPFT_RKS3_EXadL_ZNS_16gelu_tanh_kernelIfEES3_S5_EETnPFT0_RKS9_EXadL_ZNS_23packed_gelu_tanh_kernelIS2_EES3_S5_EELb1ELb0ELb0ELb0EEEvPS3_PS4_if,"axG",@progbits,_ZN4vllm18act_and_mul_kernelIf15HIP_vector_typeIfLj2EETnPFT_RKS3_EXadL_ZNS_16gelu_tanh_kernelIfEES3_S5_EETnPFT0_RKS9_EXadL_ZNS_23packed_gelu_tanh_kernelIS2_EES3_S5_EELb1ELb0ELb0ELb0EEEvPS3_PS4_if,comdat
	.protected	_ZN4vllm18act_and_mul_kernelIf15HIP_vector_typeIfLj2EETnPFT_RKS3_EXadL_ZNS_16gelu_tanh_kernelIfEES3_S5_EETnPFT0_RKS9_EXadL_ZNS_23packed_gelu_tanh_kernelIS2_EES3_S5_EELb1ELb0ELb0ELb0EEEvPS3_PS4_if ; -- Begin function _ZN4vllm18act_and_mul_kernelIf15HIP_vector_typeIfLj2EETnPFT_RKS3_EXadL_ZNS_16gelu_tanh_kernelIfEES3_S5_EETnPFT0_RKS9_EXadL_ZNS_23packed_gelu_tanh_kernelIS2_EES3_S5_EELb1ELb0ELb0ELb0EEEvPS3_PS4_if
	.globl	_ZN4vllm18act_and_mul_kernelIf15HIP_vector_typeIfLj2EETnPFT_RKS3_EXadL_ZNS_16gelu_tanh_kernelIfEES3_S5_EETnPFT0_RKS9_EXadL_ZNS_23packed_gelu_tanh_kernelIS2_EES3_S5_EELb1ELb0ELb0ELb0EEEvPS3_PS4_if
	.p2align	8
	.type	_ZN4vllm18act_and_mul_kernelIf15HIP_vector_typeIfLj2EETnPFT_RKS3_EXadL_ZNS_16gelu_tanh_kernelIfEES3_S5_EETnPFT0_RKS9_EXadL_ZNS_23packed_gelu_tanh_kernelIS2_EES3_S5_EELb1ELb0ELb0ELb0EEEvPS3_PS4_if,@function
_ZN4vllm18act_and_mul_kernelIf15HIP_vector_typeIfLj2EETnPFT_RKS3_EXadL_ZNS_16gelu_tanh_kernelIfEES3_S5_EETnPFT0_RKS9_EXadL_ZNS_23packed_gelu_tanh_kernelIS2_EES3_S5_EELb1ELb0ELb0ELb0EEEvPS3_PS4_if: ; @_ZN4vllm18act_and_mul_kernelIf15HIP_vector_typeIfLj2EETnPFT_RKS3_EXadL_ZNS_16gelu_tanh_kernelIfEES3_S5_EETnPFT0_RKS9_EXadL_ZNS_23packed_gelu_tanh_kernelIS2_EES3_S5_EELb1ELb0ELb0ELb0EEEvPS3_PS4_if
; %bb.0:
	s_load_b32 s2, s[0:1], 0x10
	s_mov_b32 s3, exec_lo
	s_waitcnt lgkmcnt(0)
	v_cmpx_gt_i32_e64 s2, v0
	s_cbranch_execz .LBB44_7
; %bb.1:
	s_clause 0x1
	s_load_b128 s[8:11], s[0:1], 0x0
	s_load_b32 s14, s[0:1], 0x24
	s_mul_i32 s12, s15, s2
	s_mov_b32 s1, 0
	s_lshl_b32 s0, s12, 1
	v_dual_mov_b32 v1, 0 :: v_dual_lshlrev_b32 v2, 2, v0
	s_lshl_b64 s[4:5], s[0:1], 2
	s_mov_b32 s13, s1
	s_delay_alu instid0(VALU_DEP_1) | instskip(SKIP_4) | instid1(SALU_CYCLE_1)
	v_mov_b32_e32 v3, v1
	s_waitcnt lgkmcnt(0)
	s_add_u32 s4, s10, s4
	s_addc_u32 s5, s11, s5
	s_ashr_i32 s3, s2, 31
	s_lshl_b64 s[6:7], s[2:3], 2
	s_delay_alu instid0(SALU_CYCLE_1)
	s_add_u32 s6, s4, s6
	s_addc_u32 s7, s5, s7
	s_lshl_b64 s[10:11], s[12:13], 2
	s_mov_b32 s12, 0xbbbac73d
	s_add_u32 s8, s8, s10
	s_addc_u32 s9, s9, s11
	s_and_b32 s10, s14, 0xffff
	s_delay_alu instid0(SALU_CYCLE_1)
	s_lshl_b32 s11, s10, 2
	s_branch .LBB44_3
.LBB44_2:                               ;   in Loop: Header=BB44_3 Depth=1
	s_or_b32 exec_lo, exec_lo, s0
	s_waitcnt_depctr 0xfff
	v_bfi_b32 v6, 0x7fffffff, v7, v6
	v_mul_f32_e32 v5, 0.5, v5
	v_add_co_u32 v0, vcc_lo, v0, s10
	v_add_co_ci_u32_e32 v1, vcc_lo, 0, v1, vcc_lo
	s_delay_alu instid0(VALU_DEP_4) | instskip(NEXT) | instid1(VALU_DEP_1)
	v_add_f32_e32 v6, 1.0, v6
	v_mul_f32_e32 v7, v5, v6
	v_add_co_u32 v5, vcc_lo, s8, v2
	v_add_co_ci_u32_e32 v6, vcc_lo, s9, v3, vcc_lo
	v_cmp_le_i64_e32 vcc_lo, s[2:3], v[0:1]
	v_add_co_u32 v2, s0, v2, s11
	s_waitcnt vmcnt(0)
	v_mul_f32_e32 v4, v4, v7
	v_add_co_ci_u32_e64 v3, s0, 0, v3, s0
	s_or_b32 s1, vcc_lo, s1
	global_store_b32 v[5:6], v4, off
	s_and_not1_b32 exec_lo, exec_lo, s1
	s_cbranch_execz .LBB44_7
.LBB44_3:                               ; =>This Inner Loop Header: Depth=1
	v_add_co_u32 v4, vcc_lo, s4, v2
	v_add_co_ci_u32_e32 v5, vcc_lo, s5, v3, vcc_lo
	v_add_co_u32 v6, vcc_lo, s6, v2
	v_add_co_ci_u32_e32 v7, vcc_lo, s7, v3, vcc_lo
	s_clause 0x1
	global_load_b32 v5, v[4:5], off
	global_load_b32 v4, v[6:7], off
                                        ; implicit-def: $vgpr7
	s_waitcnt vmcnt(1)
	v_mul_f32_e32 v6, v5, v5
	s_delay_alu instid0(VALU_DEP_1) | instskip(NEXT) | instid1(VALU_DEP_1)
	v_mul_f32_e32 v6, v5, v6
	v_fmamk_f32 v6, v6, 0x3d372713, v5
	s_delay_alu instid0(VALU_DEP_1) | instskip(NEXT) | instid1(VALU_DEP_1)
	v_mul_f32_e32 v6, 0x3f4c422a, v6
	v_cmp_ngt_f32_e64 s0, 0x3f200000, |v6|
	s_delay_alu instid0(VALU_DEP_1) | instskip(NEXT) | instid1(SALU_CYCLE_1)
	s_and_saveexec_b32 s13, s0
	s_xor_b32 s0, exec_lo, s13
	s_cbranch_execz .LBB44_5
; %bb.4:                                ;   in Loop: Header=BB44_3 Depth=1
	v_add_f32_e64 v7, |v6|, |v6|
	s_delay_alu instid0(VALU_DEP_1) | instskip(SKIP_1) | instid1(VALU_DEP_2)
	v_mul_f32_e32 v8, 0x3fb8aa3b, v7
	v_cmp_ngt_f32_e32 vcc_lo, 0xc2ce8ed0, v7
	v_rndne_f32_e32 v9, v8
	v_fma_f32 v10, 0x3fb8aa3b, v7, -v8
	s_delay_alu instid0(VALU_DEP_2) | instskip(NEXT) | instid1(VALU_DEP_2)
	v_sub_f32_e32 v8, v8, v9
	v_fmac_f32_e32 v10, 0x32a5705f, v7
	v_cvt_i32_f32_e32 v9, v9
	s_delay_alu instid0(VALU_DEP_2) | instskip(NEXT) | instid1(VALU_DEP_1)
	v_add_f32_e32 v8, v8, v10
	v_exp_f32_e32 v8, v8
	s_waitcnt_depctr 0xfff
	v_ldexp_f32 v8, v8, v9
	s_delay_alu instid0(VALU_DEP_1) | instskip(SKIP_1) | instid1(VALU_DEP_2)
	v_cndmask_b32_e32 v8, 0, v8, vcc_lo
	v_cmp_nlt_f32_e32 vcc_lo, 0x42b17218, v7
	v_cndmask_b32_e32 v7, 0x7f800000, v8, vcc_lo
	s_delay_alu instid0(VALU_DEP_1) | instskip(NEXT) | instid1(VALU_DEP_1)
	v_add_f32_e32 v7, 1.0, v7
	v_rcp_f32_e32 v7, v7
	s_waitcnt_depctr 0xfff
	v_fma_f32 v7, v7, -2.0, 1.0
.LBB44_5:                               ;   in Loop: Header=BB44_3 Depth=1
	s_and_not1_saveexec_b32 s0, s0
	s_cbranch_execz .LBB44_2
; %bb.6:                                ;   in Loop: Header=BB44_3 Depth=1
	v_mul_f32_e32 v7, v6, v6
	s_delay_alu instid0(VALU_DEP_1) | instskip(NEXT) | instid1(VALU_DEP_1)
	v_fmaak_f32 v8, s12, v7, 0x3ca908c9
	v_fmaak_f32 v8, v7, v8, 0xbd5c1c4e
	s_delay_alu instid0(VALU_DEP_1) | instskip(NEXT) | instid1(VALU_DEP_1)
	v_fmaak_f32 v8, v7, v8, 0x3e088382
	v_fmaak_f32 v8, v7, v8, 0xbeaaaa99
	s_delay_alu instid0(VALU_DEP_1) | instskip(NEXT) | instid1(VALU_DEP_1)
	v_mul_f32_e64 v8, |v6|, v8
	v_fma_f32 v7, v7, v8, |v6|
	s_branch .LBB44_2
.LBB44_7:
	s_nop 0
	s_sendmsg sendmsg(MSG_DEALLOC_VGPRS)
	s_endpgm
	.section	.rodata,"a",@progbits
	.p2align	6, 0x0
	.amdhsa_kernel _ZN4vllm18act_and_mul_kernelIf15HIP_vector_typeIfLj2EETnPFT_RKS3_EXadL_ZNS_16gelu_tanh_kernelIfEES3_S5_EETnPFT0_RKS9_EXadL_ZNS_23packed_gelu_tanh_kernelIS2_EES3_S5_EELb1ELb0ELb0ELb0EEEvPS3_PS4_if
		.amdhsa_group_segment_fixed_size 0
		.amdhsa_private_segment_fixed_size 0
		.amdhsa_kernarg_size 280
		.amdhsa_user_sgpr_count 15
		.amdhsa_user_sgpr_dispatch_ptr 0
		.amdhsa_user_sgpr_queue_ptr 0
		.amdhsa_user_sgpr_kernarg_segment_ptr 1
		.amdhsa_user_sgpr_dispatch_id 0
		.amdhsa_user_sgpr_private_segment_size 0
		.amdhsa_wavefront_size32 1
		.amdhsa_uses_dynamic_stack 0
		.amdhsa_enable_private_segment 0
		.amdhsa_system_sgpr_workgroup_id_x 1
		.amdhsa_system_sgpr_workgroup_id_y 0
		.amdhsa_system_sgpr_workgroup_id_z 0
		.amdhsa_system_sgpr_workgroup_info 0
		.amdhsa_system_vgpr_workitem_id 0
		.amdhsa_next_free_vgpr 11
		.amdhsa_next_free_sgpr 16
		.amdhsa_reserve_vcc 1
		.amdhsa_float_round_mode_32 0
		.amdhsa_float_round_mode_16_64 0
		.amdhsa_float_denorm_mode_32 3
		.amdhsa_float_denorm_mode_16_64 3
		.amdhsa_dx10_clamp 1
		.amdhsa_ieee_mode 1
		.amdhsa_fp16_overflow 0
		.amdhsa_workgroup_processor_mode 1
		.amdhsa_memory_ordered 1
		.amdhsa_forward_progress 0
		.amdhsa_shared_vgpr_count 0
		.amdhsa_exception_fp_ieee_invalid_op 0
		.amdhsa_exception_fp_denorm_src 0
		.amdhsa_exception_fp_ieee_div_zero 0
		.amdhsa_exception_fp_ieee_overflow 0
		.amdhsa_exception_fp_ieee_underflow 0
		.amdhsa_exception_fp_ieee_inexact 0
		.amdhsa_exception_int_div_zero 0
	.end_amdhsa_kernel
	.section	.text._ZN4vllm18act_and_mul_kernelIf15HIP_vector_typeIfLj2EETnPFT_RKS3_EXadL_ZNS_16gelu_tanh_kernelIfEES3_S5_EETnPFT0_RKS9_EXadL_ZNS_23packed_gelu_tanh_kernelIS2_EES3_S5_EELb1ELb0ELb0ELb0EEEvPS3_PS4_if,"axG",@progbits,_ZN4vllm18act_and_mul_kernelIf15HIP_vector_typeIfLj2EETnPFT_RKS3_EXadL_ZNS_16gelu_tanh_kernelIfEES3_S5_EETnPFT0_RKS9_EXadL_ZNS_23packed_gelu_tanh_kernelIS2_EES3_S5_EELb1ELb0ELb0ELb0EEEvPS3_PS4_if,comdat
.Lfunc_end44:
	.size	_ZN4vllm18act_and_mul_kernelIf15HIP_vector_typeIfLj2EETnPFT_RKS3_EXadL_ZNS_16gelu_tanh_kernelIfEES3_S5_EETnPFT0_RKS9_EXadL_ZNS_23packed_gelu_tanh_kernelIS2_EES3_S5_EELb1ELb0ELb0ELb0EEEvPS3_PS4_if, .Lfunc_end44-_ZN4vllm18act_and_mul_kernelIf15HIP_vector_typeIfLj2EETnPFT_RKS3_EXadL_ZNS_16gelu_tanh_kernelIfEES3_S5_EETnPFT0_RKS9_EXadL_ZNS_23packed_gelu_tanh_kernelIS2_EES3_S5_EELb1ELb0ELb0ELb0EEEvPS3_PS4_if
                                        ; -- End function
	.section	.AMDGPU.csdata,"",@progbits
; Kernel info:
; codeLenInByte = 596
; NumSgprs: 18
; NumVgprs: 11
; ScratchSize: 0
; MemoryBound: 0
; FloatMode: 240
; IeeeMode: 1
; LDSByteSize: 0 bytes/workgroup (compile time only)
; SGPRBlocks: 2
; VGPRBlocks: 1
; NumSGPRsForWavesPerEU: 18
; NumVGPRsForWavesPerEU: 11
; Occupancy: 16
; WaveLimiterHint : 0
; COMPUTE_PGM_RSRC2:SCRATCH_EN: 0
; COMPUTE_PGM_RSRC2:USER_SGPR: 15
; COMPUTE_PGM_RSRC2:TRAP_HANDLER: 0
; COMPUTE_PGM_RSRC2:TGID_X_EN: 1
; COMPUTE_PGM_RSRC2:TGID_Y_EN: 0
; COMPUTE_PGM_RSRC2:TGID_Z_EN: 0
; COMPUTE_PGM_RSRC2:TIDIG_COMP_CNT: 0
	.section	.text._ZN4vllm18act_and_mul_kernelIN3c104HalfE7__half2TnPFT_RKS4_EXadL_ZNS_16gelu_tanh_kernelIS2_EES4_S6_EETnPFT0_RKSA_EXadL_ZNS_23packed_gelu_tanh_kernelIS3_EES4_S6_EELb1ELb0ELb0ELb0EEEvPS4_PS5_if,"axG",@progbits,_ZN4vllm18act_and_mul_kernelIN3c104HalfE7__half2TnPFT_RKS4_EXadL_ZNS_16gelu_tanh_kernelIS2_EES4_S6_EETnPFT0_RKSA_EXadL_ZNS_23packed_gelu_tanh_kernelIS3_EES4_S6_EELb1ELb0ELb0ELb0EEEvPS4_PS5_if,comdat
	.protected	_ZN4vllm18act_and_mul_kernelIN3c104HalfE7__half2TnPFT_RKS4_EXadL_ZNS_16gelu_tanh_kernelIS2_EES4_S6_EETnPFT0_RKSA_EXadL_ZNS_23packed_gelu_tanh_kernelIS3_EES4_S6_EELb1ELb0ELb0ELb0EEEvPS4_PS5_if ; -- Begin function _ZN4vllm18act_and_mul_kernelIN3c104HalfE7__half2TnPFT_RKS4_EXadL_ZNS_16gelu_tanh_kernelIS2_EES4_S6_EETnPFT0_RKSA_EXadL_ZNS_23packed_gelu_tanh_kernelIS3_EES4_S6_EELb1ELb0ELb0ELb0EEEvPS4_PS5_if
	.globl	_ZN4vllm18act_and_mul_kernelIN3c104HalfE7__half2TnPFT_RKS4_EXadL_ZNS_16gelu_tanh_kernelIS2_EES4_S6_EETnPFT0_RKSA_EXadL_ZNS_23packed_gelu_tanh_kernelIS3_EES4_S6_EELb1ELb0ELb0ELb0EEEvPS4_PS5_if
	.p2align	8
	.type	_ZN4vllm18act_and_mul_kernelIN3c104HalfE7__half2TnPFT_RKS4_EXadL_ZNS_16gelu_tanh_kernelIS2_EES4_S6_EETnPFT0_RKSA_EXadL_ZNS_23packed_gelu_tanh_kernelIS3_EES4_S6_EELb1ELb0ELb0ELb0EEEvPS4_PS5_if,@function
_ZN4vllm18act_and_mul_kernelIN3c104HalfE7__half2TnPFT_RKS4_EXadL_ZNS_16gelu_tanh_kernelIS2_EES4_S6_EETnPFT0_RKSA_EXadL_ZNS_23packed_gelu_tanh_kernelIS3_EES4_S6_EELb1ELb0ELb0ELb0EEEvPS4_PS5_if: ; @_ZN4vllm18act_and_mul_kernelIN3c104HalfE7__half2TnPFT_RKS4_EXadL_ZNS_16gelu_tanh_kernelIS2_EES4_S6_EETnPFT0_RKSA_EXadL_ZNS_23packed_gelu_tanh_kernelIS3_EES4_S6_EELb1ELb0ELb0ELb0EEEvPS4_PS5_if
; %bb.0:
	s_load_b32 s2, s[0:1], 0x10
	s_mov_b32 s3, exec_lo
	s_waitcnt lgkmcnt(0)
	v_cmpx_gt_i32_e64 s2, v0
	s_cbranch_execz .LBB45_7
; %bb.1:
	s_clause 0x1
	s_load_b128 s[8:11], s[0:1], 0x0
	s_load_b32 s14, s[0:1], 0x24
	s_mul_i32 s12, s15, s2
	s_mov_b32 s1, 0
	s_lshl_b32 s0, s12, 1
	v_dual_mov_b32 v1, 0 :: v_dual_lshlrev_b32 v2, 1, v0
	s_lshl_b64 s[4:5], s[0:1], 1
	s_mov_b32 s13, s1
	s_delay_alu instid0(VALU_DEP_1) | instskip(SKIP_4) | instid1(SALU_CYCLE_1)
	v_mov_b32_e32 v3, v1
	s_waitcnt lgkmcnt(0)
	s_add_u32 s4, s10, s4
	s_addc_u32 s5, s11, s5
	s_ashr_i32 s3, s2, 31
	s_lshl_b64 s[6:7], s[2:3], 1
	s_delay_alu instid0(SALU_CYCLE_1)
	s_add_u32 s6, s4, s6
	s_addc_u32 s7, s5, s7
	s_lshl_b64 s[10:11], s[12:13], 1
	s_mov_b32 s13, 0xbbbac73d
	s_add_u32 s8, s8, s10
	s_addc_u32 s9, s9, s11
	s_and_b32 s10, s14, 0xffff
	s_mov_b32 s11, 0x3d372713
	s_lshl_b32 s12, s10, 1
	s_branch .LBB45_3
.LBB45_2:                               ;   in Loop: Header=BB45_3 Depth=1
	s_or_b32 exec_lo, exec_lo, s0
	s_waitcnt_depctr 0xfff
	v_bfi_b32 v6, 0x7fffffff, v7, v6
	v_mul_f32_e32 v5, 0.5, v5
	v_add_co_u32 v0, vcc_lo, v0, s10
	v_add_co_ci_u32_e32 v1, vcc_lo, 0, v1, vcc_lo
	s_delay_alu instid0(VALU_DEP_4) | instskip(NEXT) | instid1(VALU_DEP_1)
	v_add_f32_e32 v6, 1.0, v6
	v_fma_mixlo_f16 v7, v5, v6, 0
	v_add_co_u32 v5, vcc_lo, s8, v2
	v_add_co_ci_u32_e32 v6, vcc_lo, s9, v3, vcc_lo
	v_cmp_le_i64_e32 vcc_lo, s[2:3], v[0:1]
	v_add_co_u32 v2, s0, v2, s12
	s_waitcnt vmcnt(0)
	v_mul_f16_e32 v4, v4, v7
	v_add_co_ci_u32_e64 v3, s0, 0, v3, s0
	s_or_b32 s1, vcc_lo, s1
	global_store_b16 v[5:6], v4, off
	s_and_not1_b32 exec_lo, exec_lo, s1
	s_cbranch_execz .LBB45_7
.LBB45_3:                               ; =>This Inner Loop Header: Depth=1
	v_add_co_u32 v4, vcc_lo, s4, v2
	v_add_co_ci_u32_e32 v5, vcc_lo, s5, v3, vcc_lo
	global_load_u16 v6, v[4:5], off
	v_add_co_u32 v4, vcc_lo, s6, v2
	v_add_co_ci_u32_e32 v5, vcc_lo, s7, v3, vcc_lo
	global_load_u16 v4, v[4:5], off
	s_waitcnt vmcnt(1)
	v_cvt_f32_f16_e32 v5, v6
	s_delay_alu instid0(VALU_DEP_1) | instskip(NEXT) | instid1(VALU_DEP_1)
	v_mul_f32_e32 v7, v5, v5
	v_mul_f32_e32 v7, v7, v5
	s_delay_alu instid0(VALU_DEP_1) | instskip(NEXT) | instid1(VALU_DEP_1)
	v_fma_mix_f32 v6, v7, s11, v6 op_sel_hi:[0,0,1]
                                        ; implicit-def: $vgpr7
	v_mul_f32_e32 v6, 0x3f4c422a, v6
	s_delay_alu instid0(VALU_DEP_1) | instskip(NEXT) | instid1(VALU_DEP_1)
	v_cmp_ngt_f32_e64 s0, 0x3f200000, |v6|
	s_and_saveexec_b32 s14, s0
	s_delay_alu instid0(SALU_CYCLE_1)
	s_xor_b32 s0, exec_lo, s14
	s_cbranch_execz .LBB45_5
; %bb.4:                                ;   in Loop: Header=BB45_3 Depth=1
	v_add_f32_e64 v7, |v6|, |v6|
	s_delay_alu instid0(VALU_DEP_1) | instskip(SKIP_1) | instid1(VALU_DEP_2)
	v_mul_f32_e32 v8, 0x3fb8aa3b, v7
	v_cmp_ngt_f32_e32 vcc_lo, 0xc2ce8ed0, v7
	v_rndne_f32_e32 v9, v8
	v_fma_f32 v10, 0x3fb8aa3b, v7, -v8
	s_delay_alu instid0(VALU_DEP_2) | instskip(NEXT) | instid1(VALU_DEP_2)
	v_sub_f32_e32 v8, v8, v9
	v_fmac_f32_e32 v10, 0x32a5705f, v7
	v_cvt_i32_f32_e32 v9, v9
	s_delay_alu instid0(VALU_DEP_2) | instskip(NEXT) | instid1(VALU_DEP_1)
	v_add_f32_e32 v8, v8, v10
	v_exp_f32_e32 v8, v8
	s_waitcnt_depctr 0xfff
	v_ldexp_f32 v8, v8, v9
	s_delay_alu instid0(VALU_DEP_1) | instskip(SKIP_1) | instid1(VALU_DEP_2)
	v_cndmask_b32_e32 v8, 0, v8, vcc_lo
	v_cmp_nlt_f32_e32 vcc_lo, 0x42b17218, v7
	v_cndmask_b32_e32 v7, 0x7f800000, v8, vcc_lo
	s_delay_alu instid0(VALU_DEP_1) | instskip(NEXT) | instid1(VALU_DEP_1)
	v_add_f32_e32 v7, 1.0, v7
	v_rcp_f32_e32 v7, v7
	s_waitcnt_depctr 0xfff
	v_fma_f32 v7, v7, -2.0, 1.0
.LBB45_5:                               ;   in Loop: Header=BB45_3 Depth=1
	s_and_not1_saveexec_b32 s0, s0
	s_cbranch_execz .LBB45_2
; %bb.6:                                ;   in Loop: Header=BB45_3 Depth=1
	v_mul_f32_e32 v7, v6, v6
	s_delay_alu instid0(VALU_DEP_1) | instskip(NEXT) | instid1(VALU_DEP_1)
	v_fmaak_f32 v8, s13, v7, 0x3ca908c9
	v_fmaak_f32 v8, v7, v8, 0xbd5c1c4e
	s_delay_alu instid0(VALU_DEP_1) | instskip(NEXT) | instid1(VALU_DEP_1)
	v_fmaak_f32 v8, v7, v8, 0x3e088382
	v_fmaak_f32 v8, v7, v8, 0xbeaaaa99
	s_delay_alu instid0(VALU_DEP_1) | instskip(NEXT) | instid1(VALU_DEP_1)
	v_mul_f32_e64 v8, |v6|, v8
	v_fma_f32 v7, v7, v8, |v6|
	s_branch .LBB45_2
.LBB45_7:
	s_nop 0
	s_sendmsg sendmsg(MSG_DEALLOC_VGPRS)
	s_endpgm
	.section	.rodata,"a",@progbits
	.p2align	6, 0x0
	.amdhsa_kernel _ZN4vllm18act_and_mul_kernelIN3c104HalfE7__half2TnPFT_RKS4_EXadL_ZNS_16gelu_tanh_kernelIS2_EES4_S6_EETnPFT0_RKSA_EXadL_ZNS_23packed_gelu_tanh_kernelIS3_EES4_S6_EELb1ELb0ELb0ELb0EEEvPS4_PS5_if
		.amdhsa_group_segment_fixed_size 0
		.amdhsa_private_segment_fixed_size 0
		.amdhsa_kernarg_size 280
		.amdhsa_user_sgpr_count 15
		.amdhsa_user_sgpr_dispatch_ptr 0
		.amdhsa_user_sgpr_queue_ptr 0
		.amdhsa_user_sgpr_kernarg_segment_ptr 1
		.amdhsa_user_sgpr_dispatch_id 0
		.amdhsa_user_sgpr_private_segment_size 0
		.amdhsa_wavefront_size32 1
		.amdhsa_uses_dynamic_stack 0
		.amdhsa_enable_private_segment 0
		.amdhsa_system_sgpr_workgroup_id_x 1
		.amdhsa_system_sgpr_workgroup_id_y 0
		.amdhsa_system_sgpr_workgroup_id_z 0
		.amdhsa_system_sgpr_workgroup_info 0
		.amdhsa_system_vgpr_workitem_id 0
		.amdhsa_next_free_vgpr 11
		.amdhsa_next_free_sgpr 16
		.amdhsa_reserve_vcc 1
		.amdhsa_float_round_mode_32 0
		.amdhsa_float_round_mode_16_64 0
		.amdhsa_float_denorm_mode_32 3
		.amdhsa_float_denorm_mode_16_64 3
		.amdhsa_dx10_clamp 1
		.amdhsa_ieee_mode 1
		.amdhsa_fp16_overflow 0
		.amdhsa_workgroup_processor_mode 1
		.amdhsa_memory_ordered 1
		.amdhsa_forward_progress 0
		.amdhsa_shared_vgpr_count 0
		.amdhsa_exception_fp_ieee_invalid_op 0
		.amdhsa_exception_fp_denorm_src 0
		.amdhsa_exception_fp_ieee_div_zero 0
		.amdhsa_exception_fp_ieee_overflow 0
		.amdhsa_exception_fp_ieee_underflow 0
		.amdhsa_exception_fp_ieee_inexact 0
		.amdhsa_exception_int_div_zero 0
	.end_amdhsa_kernel
	.section	.text._ZN4vllm18act_and_mul_kernelIN3c104HalfE7__half2TnPFT_RKS4_EXadL_ZNS_16gelu_tanh_kernelIS2_EES4_S6_EETnPFT0_RKSA_EXadL_ZNS_23packed_gelu_tanh_kernelIS3_EES4_S6_EELb1ELb0ELb0ELb0EEEvPS4_PS5_if,"axG",@progbits,_ZN4vllm18act_and_mul_kernelIN3c104HalfE7__half2TnPFT_RKS4_EXadL_ZNS_16gelu_tanh_kernelIS2_EES4_S6_EETnPFT0_RKSA_EXadL_ZNS_23packed_gelu_tanh_kernelIS3_EES4_S6_EELb1ELb0ELb0ELb0EEEvPS4_PS5_if,comdat
.Lfunc_end45:
	.size	_ZN4vllm18act_and_mul_kernelIN3c104HalfE7__half2TnPFT_RKS4_EXadL_ZNS_16gelu_tanh_kernelIS2_EES4_S6_EETnPFT0_RKSA_EXadL_ZNS_23packed_gelu_tanh_kernelIS3_EES4_S6_EELb1ELb0ELb0ELb0EEEvPS4_PS5_if, .Lfunc_end45-_ZN4vllm18act_and_mul_kernelIN3c104HalfE7__half2TnPFT_RKS4_EXadL_ZNS_16gelu_tanh_kernelIS2_EES4_S6_EETnPFT0_RKSA_EXadL_ZNS_23packed_gelu_tanh_kernelIS3_EES4_S6_EELb1ELb0ELb0ELb0EEEvPS4_PS5_if
                                        ; -- End function
	.section	.AMDGPU.csdata,"",@progbits
; Kernel info:
; codeLenInByte = 608
; NumSgprs: 18
; NumVgprs: 11
; ScratchSize: 0
; MemoryBound: 0
; FloatMode: 240
; IeeeMode: 1
; LDSByteSize: 0 bytes/workgroup (compile time only)
; SGPRBlocks: 2
; VGPRBlocks: 1
; NumSGPRsForWavesPerEU: 18
; NumVGPRsForWavesPerEU: 11
; Occupancy: 16
; WaveLimiterHint : 0
; COMPUTE_PGM_RSRC2:SCRATCH_EN: 0
; COMPUTE_PGM_RSRC2:USER_SGPR: 15
; COMPUTE_PGM_RSRC2:TRAP_HANDLER: 0
; COMPUTE_PGM_RSRC2:TGID_X_EN: 1
; COMPUTE_PGM_RSRC2:TGID_Y_EN: 0
; COMPUTE_PGM_RSRC2:TGID_Z_EN: 0
; COMPUTE_PGM_RSRC2:TIDIG_COMP_CNT: 0
	.section	.text._ZN4vllm18act_and_mul_kernelIN3c108BFloat16E15__hip_bfloat162TnPFT_RKS4_EXadL_ZNS_16gelu_tanh_kernelIS2_EES4_S6_EETnPFT0_RKSA_EXadL_ZNS_23packed_gelu_tanh_kernelIS3_EES4_S6_EELb1ELb0ELb0ELb0EEEvPS4_PS5_if,"axG",@progbits,_ZN4vllm18act_and_mul_kernelIN3c108BFloat16E15__hip_bfloat162TnPFT_RKS4_EXadL_ZNS_16gelu_tanh_kernelIS2_EES4_S6_EETnPFT0_RKSA_EXadL_ZNS_23packed_gelu_tanh_kernelIS3_EES4_S6_EELb1ELb0ELb0ELb0EEEvPS4_PS5_if,comdat
	.protected	_ZN4vllm18act_and_mul_kernelIN3c108BFloat16E15__hip_bfloat162TnPFT_RKS4_EXadL_ZNS_16gelu_tanh_kernelIS2_EES4_S6_EETnPFT0_RKSA_EXadL_ZNS_23packed_gelu_tanh_kernelIS3_EES4_S6_EELb1ELb0ELb0ELb0EEEvPS4_PS5_if ; -- Begin function _ZN4vllm18act_and_mul_kernelIN3c108BFloat16E15__hip_bfloat162TnPFT_RKS4_EXadL_ZNS_16gelu_tanh_kernelIS2_EES4_S6_EETnPFT0_RKSA_EXadL_ZNS_23packed_gelu_tanh_kernelIS3_EES4_S6_EELb1ELb0ELb0ELb0EEEvPS4_PS5_if
	.globl	_ZN4vllm18act_and_mul_kernelIN3c108BFloat16E15__hip_bfloat162TnPFT_RKS4_EXadL_ZNS_16gelu_tanh_kernelIS2_EES4_S6_EETnPFT0_RKSA_EXadL_ZNS_23packed_gelu_tanh_kernelIS3_EES4_S6_EELb1ELb0ELb0ELb0EEEvPS4_PS5_if
	.p2align	8
	.type	_ZN4vllm18act_and_mul_kernelIN3c108BFloat16E15__hip_bfloat162TnPFT_RKS4_EXadL_ZNS_16gelu_tanh_kernelIS2_EES4_S6_EETnPFT0_RKSA_EXadL_ZNS_23packed_gelu_tanh_kernelIS3_EES4_S6_EELb1ELb0ELb0ELb0EEEvPS4_PS5_if,@function
_ZN4vllm18act_and_mul_kernelIN3c108BFloat16E15__hip_bfloat162TnPFT_RKS4_EXadL_ZNS_16gelu_tanh_kernelIS2_EES4_S6_EETnPFT0_RKSA_EXadL_ZNS_23packed_gelu_tanh_kernelIS3_EES4_S6_EELb1ELb0ELb0ELb0EEEvPS4_PS5_if: ; @_ZN4vllm18act_and_mul_kernelIN3c108BFloat16E15__hip_bfloat162TnPFT_RKS4_EXadL_ZNS_16gelu_tanh_kernelIS2_EES4_S6_EETnPFT0_RKSA_EXadL_ZNS_23packed_gelu_tanh_kernelIS3_EES4_S6_EELb1ELb0ELb0ELb0EEEvPS4_PS5_if
; %bb.0:
	s_load_b32 s2, s[0:1], 0x10
	s_mov_b32 s3, exec_lo
	s_waitcnt lgkmcnt(0)
	v_cmpx_gt_i32_e64 s2, v0
	s_cbranch_execz .LBB46_7
; %bb.1:
	s_clause 0x1
	s_load_b128 s[8:11], s[0:1], 0x0
	s_load_b32 s14, s[0:1], 0x24
	s_mul_i32 s12, s15, s2
	s_mov_b32 s1, 0
	s_lshl_b32 s0, s12, 1
	v_dual_mov_b32 v1, 0 :: v_dual_lshlrev_b32 v2, 1, v0
	s_lshl_b64 s[4:5], s[0:1], 1
	s_mov_b32 s13, s1
	s_delay_alu instid0(VALU_DEP_1) | instskip(SKIP_4) | instid1(SALU_CYCLE_1)
	v_mov_b32_e32 v3, v1
	s_waitcnt lgkmcnt(0)
	s_add_u32 s4, s10, s4
	s_addc_u32 s5, s11, s5
	s_ashr_i32 s3, s2, 31
	s_lshl_b64 s[6:7], s[2:3], 1
	s_delay_alu instid0(SALU_CYCLE_1)
	s_add_u32 s6, s4, s6
	s_addc_u32 s7, s5, s7
	s_lshl_b64 s[10:11], s[12:13], 1
	s_mov_b32 s12, 0xbbbac73d
	s_add_u32 s8, s8, s10
	s_addc_u32 s9, s9, s11
	s_and_b32 s10, s14, 0xffff
	s_delay_alu instid0(SALU_CYCLE_1)
	s_lshl_b32 s11, s10, 1
	s_branch .LBB46_3
.LBB46_2:                               ;   in Loop: Header=BB46_3 Depth=1
	s_or_b32 exec_lo, exec_lo, s0
	s_waitcnt_depctr 0xfff
	v_bfi_b32 v6, 0x7fffffff, v7, v6
	s_waitcnt vmcnt(0)
	v_dual_mul_f32 v5, 0.5, v5 :: v_dual_lshlrev_b32 v4, 16, v4
	s_delay_alu instid0(VALU_DEP_2) | instskip(NEXT) | instid1(VALU_DEP_1)
	v_add_f32_e32 v6, 1.0, v6
	v_mul_f32_e32 v5, v5, v6
	s_delay_alu instid0(VALU_DEP_1) | instskip(SKIP_1) | instid1(VALU_DEP_2)
	v_bfe_u32 v6, v5, 16, 1
	v_cmp_o_f32_e32 vcc_lo, v5, v5
	v_add3_u32 v6, v5, v6, 0x7fff
	s_delay_alu instid0(VALU_DEP_1) | instskip(NEXT) | instid1(VALU_DEP_1)
	v_and_b32_e32 v6, 0xffff0000, v6
	v_cndmask_b32_e32 v5, 0x7fc00000, v6, vcc_lo
	v_add_co_u32 v0, vcc_lo, v0, s10
	v_add_co_ci_u32_e32 v1, vcc_lo, 0, v1, vcc_lo
	s_delay_alu instid0(VALU_DEP_3) | instskip(NEXT) | instid1(VALU_DEP_1)
	v_mul_f32_e32 v6, v5, v4
	v_bfe_u32 v4, v6, 16, 1
	v_cmp_o_f32_e64 s0, v6, v6
	s_delay_alu instid0(VALU_DEP_2) | instskip(NEXT) | instid1(VALU_DEP_1)
	v_add3_u32 v4, v6, v4, 0x7fff
	v_lshrrev_b32_e32 v7, 16, v4
	v_add_co_u32 v4, vcc_lo, s8, v2
	v_add_co_ci_u32_e32 v5, vcc_lo, s9, v3, vcc_lo
	v_cmp_le_i64_e32 vcc_lo, s[2:3], v[0:1]
	s_delay_alu instid0(VALU_DEP_4) | instskip(SKIP_1) | instid1(VALU_DEP_1)
	v_cndmask_b32_e64 v6, 0x7fc0, v7, s0
	v_add_co_u32 v2, s0, v2, s11
	v_add_co_ci_u32_e64 v3, s0, 0, v3, s0
	s_or_b32 s1, vcc_lo, s1
	global_store_b16 v[4:5], v6, off
	s_and_not1_b32 exec_lo, exec_lo, s1
	s_cbranch_execz .LBB46_7
.LBB46_3:                               ; =>This Inner Loop Header: Depth=1
	v_add_co_u32 v4, vcc_lo, s4, v2
	v_add_co_ci_u32_e32 v5, vcc_lo, s5, v3, vcc_lo
                                        ; implicit-def: $vgpr7
	global_load_u16 v6, v[4:5], off
	v_add_co_u32 v4, vcc_lo, s6, v2
	v_add_co_ci_u32_e32 v5, vcc_lo, s7, v3, vcc_lo
	global_load_u16 v4, v[4:5], off
	s_waitcnt vmcnt(1)
	v_lshlrev_b32_e32 v5, 16, v6
	s_delay_alu instid0(VALU_DEP_1) | instskip(NEXT) | instid1(VALU_DEP_1)
	v_mul_f32_e32 v6, v5, v5
	v_mul_f32_e32 v6, v6, v5
	s_delay_alu instid0(VALU_DEP_1) | instskip(NEXT) | instid1(VALU_DEP_1)
	v_fmamk_f32 v6, v6, 0x3d372713, v5
	v_mul_f32_e32 v6, 0x3f4c422a, v6
	s_delay_alu instid0(VALU_DEP_1) | instskip(NEXT) | instid1(VALU_DEP_1)
	v_cmp_ngt_f32_e64 s0, 0x3f200000, |v6|
	s_and_saveexec_b32 s13, s0
	s_delay_alu instid0(SALU_CYCLE_1)
	s_xor_b32 s0, exec_lo, s13
	s_cbranch_execz .LBB46_5
; %bb.4:                                ;   in Loop: Header=BB46_3 Depth=1
	v_add_f32_e64 v7, |v6|, |v6|
	s_delay_alu instid0(VALU_DEP_1) | instskip(SKIP_1) | instid1(VALU_DEP_2)
	v_mul_f32_e32 v8, 0x3fb8aa3b, v7
	v_cmp_ngt_f32_e32 vcc_lo, 0xc2ce8ed0, v7
	v_rndne_f32_e32 v9, v8
	v_fma_f32 v10, 0x3fb8aa3b, v7, -v8
	s_delay_alu instid0(VALU_DEP_2) | instskip(NEXT) | instid1(VALU_DEP_2)
	v_sub_f32_e32 v8, v8, v9
	v_fmac_f32_e32 v10, 0x32a5705f, v7
	v_cvt_i32_f32_e32 v9, v9
	s_delay_alu instid0(VALU_DEP_2) | instskip(NEXT) | instid1(VALU_DEP_1)
	v_add_f32_e32 v8, v8, v10
	v_exp_f32_e32 v8, v8
	s_waitcnt_depctr 0xfff
	v_ldexp_f32 v8, v8, v9
	s_delay_alu instid0(VALU_DEP_1) | instskip(SKIP_1) | instid1(VALU_DEP_2)
	v_cndmask_b32_e32 v8, 0, v8, vcc_lo
	v_cmp_nlt_f32_e32 vcc_lo, 0x42b17218, v7
	v_cndmask_b32_e32 v7, 0x7f800000, v8, vcc_lo
	s_delay_alu instid0(VALU_DEP_1) | instskip(NEXT) | instid1(VALU_DEP_1)
	v_add_f32_e32 v7, 1.0, v7
	v_rcp_f32_e32 v7, v7
	s_waitcnt_depctr 0xfff
	v_fma_f32 v7, v7, -2.0, 1.0
.LBB46_5:                               ;   in Loop: Header=BB46_3 Depth=1
	s_and_not1_saveexec_b32 s0, s0
	s_cbranch_execz .LBB46_2
; %bb.6:                                ;   in Loop: Header=BB46_3 Depth=1
	v_mul_f32_e32 v7, v6, v6
	s_delay_alu instid0(VALU_DEP_1) | instskip(NEXT) | instid1(VALU_DEP_1)
	v_fmaak_f32 v8, s12, v7, 0x3ca908c9
	v_fmaak_f32 v8, v7, v8, 0xbd5c1c4e
	s_delay_alu instid0(VALU_DEP_1) | instskip(NEXT) | instid1(VALU_DEP_1)
	v_fmaak_f32 v8, v7, v8, 0x3e088382
	v_fmaak_f32 v8, v7, v8, 0xbeaaaa99
	s_delay_alu instid0(VALU_DEP_1) | instskip(NEXT) | instid1(VALU_DEP_1)
	v_mul_f32_e64 v8, |v6|, v8
	v_fma_f32 v7, v7, v8, |v6|
	s_branch .LBB46_2
.LBB46_7:
	s_nop 0
	s_sendmsg sendmsg(MSG_DEALLOC_VGPRS)
	s_endpgm
	.section	.rodata,"a",@progbits
	.p2align	6, 0x0
	.amdhsa_kernel _ZN4vllm18act_and_mul_kernelIN3c108BFloat16E15__hip_bfloat162TnPFT_RKS4_EXadL_ZNS_16gelu_tanh_kernelIS2_EES4_S6_EETnPFT0_RKSA_EXadL_ZNS_23packed_gelu_tanh_kernelIS3_EES4_S6_EELb1ELb0ELb0ELb0EEEvPS4_PS5_if
		.amdhsa_group_segment_fixed_size 0
		.amdhsa_private_segment_fixed_size 0
		.amdhsa_kernarg_size 280
		.amdhsa_user_sgpr_count 15
		.amdhsa_user_sgpr_dispatch_ptr 0
		.amdhsa_user_sgpr_queue_ptr 0
		.amdhsa_user_sgpr_kernarg_segment_ptr 1
		.amdhsa_user_sgpr_dispatch_id 0
		.amdhsa_user_sgpr_private_segment_size 0
		.amdhsa_wavefront_size32 1
		.amdhsa_uses_dynamic_stack 0
		.amdhsa_enable_private_segment 0
		.amdhsa_system_sgpr_workgroup_id_x 1
		.amdhsa_system_sgpr_workgroup_id_y 0
		.amdhsa_system_sgpr_workgroup_id_z 0
		.amdhsa_system_sgpr_workgroup_info 0
		.amdhsa_system_vgpr_workitem_id 0
		.amdhsa_next_free_vgpr 11
		.amdhsa_next_free_sgpr 16
		.amdhsa_reserve_vcc 1
		.amdhsa_float_round_mode_32 0
		.amdhsa_float_round_mode_16_64 0
		.amdhsa_float_denorm_mode_32 3
		.amdhsa_float_denorm_mode_16_64 3
		.amdhsa_dx10_clamp 1
		.amdhsa_ieee_mode 1
		.amdhsa_fp16_overflow 0
		.amdhsa_workgroup_processor_mode 1
		.amdhsa_memory_ordered 1
		.amdhsa_forward_progress 0
		.amdhsa_shared_vgpr_count 0
		.amdhsa_exception_fp_ieee_invalid_op 0
		.amdhsa_exception_fp_denorm_src 0
		.amdhsa_exception_fp_ieee_div_zero 0
		.amdhsa_exception_fp_ieee_overflow 0
		.amdhsa_exception_fp_ieee_underflow 0
		.amdhsa_exception_fp_ieee_inexact 0
		.amdhsa_exception_int_div_zero 0
	.end_amdhsa_kernel
	.section	.text._ZN4vllm18act_and_mul_kernelIN3c108BFloat16E15__hip_bfloat162TnPFT_RKS4_EXadL_ZNS_16gelu_tanh_kernelIS2_EES4_S6_EETnPFT0_RKSA_EXadL_ZNS_23packed_gelu_tanh_kernelIS3_EES4_S6_EELb1ELb0ELb0ELb0EEEvPS4_PS5_if,"axG",@progbits,_ZN4vllm18act_and_mul_kernelIN3c108BFloat16E15__hip_bfloat162TnPFT_RKS4_EXadL_ZNS_16gelu_tanh_kernelIS2_EES4_S6_EETnPFT0_RKSA_EXadL_ZNS_23packed_gelu_tanh_kernelIS3_EES4_S6_EELb1ELb0ELb0ELb0EEEvPS4_PS5_if,comdat
.Lfunc_end46:
	.size	_ZN4vllm18act_and_mul_kernelIN3c108BFloat16E15__hip_bfloat162TnPFT_RKS4_EXadL_ZNS_16gelu_tanh_kernelIS2_EES4_S6_EETnPFT0_RKSA_EXadL_ZNS_23packed_gelu_tanh_kernelIS3_EES4_S6_EELb1ELb0ELb0ELb0EEEvPS4_PS5_if, .Lfunc_end46-_ZN4vllm18act_and_mul_kernelIN3c108BFloat16E15__hip_bfloat162TnPFT_RKS4_EXadL_ZNS_16gelu_tanh_kernelIS2_EES4_S6_EETnPFT0_RKSA_EXadL_ZNS_23packed_gelu_tanh_kernelIS3_EES4_S6_EELb1ELb0ELb0ELb0EEEvPS4_PS5_if
                                        ; -- End function
	.section	.AMDGPU.csdata,"",@progbits
; Kernel info:
; codeLenInByte = 708
; NumSgprs: 18
; NumVgprs: 11
; ScratchSize: 0
; MemoryBound: 0
; FloatMode: 240
; IeeeMode: 1
; LDSByteSize: 0 bytes/workgroup (compile time only)
; SGPRBlocks: 2
; VGPRBlocks: 1
; NumSGPRsForWavesPerEU: 18
; NumVGPRsForWavesPerEU: 11
; Occupancy: 16
; WaveLimiterHint : 0
; COMPUTE_PGM_RSRC2:SCRATCH_EN: 0
; COMPUTE_PGM_RSRC2:USER_SGPR: 15
; COMPUTE_PGM_RSRC2:TRAP_HANDLER: 0
; COMPUTE_PGM_RSRC2:TGID_X_EN: 1
; COMPUTE_PGM_RSRC2:TGID_Y_EN: 0
; COMPUTE_PGM_RSRC2:TGID_Z_EN: 0
; COMPUTE_PGM_RSRC2:TIDIG_COMP_CNT: 0
	.section	.text._ZN4vllm29act_and_mul_kernel_with_paramIf15HIP_vector_typeIfLj2EETnPFT_RKS3_fEXadL_ZNS_14fatrelu_kernelIfEES3_S5_fEETnPFT0_RKS9_fEXadL_ZNS_21packed_fatrelu_kernelIS2_EES3_S5_fEELb1ELb1EEEvPS3_PS4_if,"axG",@progbits,_ZN4vllm29act_and_mul_kernel_with_paramIf15HIP_vector_typeIfLj2EETnPFT_RKS3_fEXadL_ZNS_14fatrelu_kernelIfEES3_S5_fEETnPFT0_RKS9_fEXadL_ZNS_21packed_fatrelu_kernelIS2_EES3_S5_fEELb1ELb1EEEvPS3_PS4_if,comdat
	.protected	_ZN4vllm29act_and_mul_kernel_with_paramIf15HIP_vector_typeIfLj2EETnPFT_RKS3_fEXadL_ZNS_14fatrelu_kernelIfEES3_S5_fEETnPFT0_RKS9_fEXadL_ZNS_21packed_fatrelu_kernelIS2_EES3_S5_fEELb1ELb1EEEvPS3_PS4_if ; -- Begin function _ZN4vllm29act_and_mul_kernel_with_paramIf15HIP_vector_typeIfLj2EETnPFT_RKS3_fEXadL_ZNS_14fatrelu_kernelIfEES3_S5_fEETnPFT0_RKS9_fEXadL_ZNS_21packed_fatrelu_kernelIS2_EES3_S5_fEELb1ELb1EEEvPS3_PS4_if
	.globl	_ZN4vllm29act_and_mul_kernel_with_paramIf15HIP_vector_typeIfLj2EETnPFT_RKS3_fEXadL_ZNS_14fatrelu_kernelIfEES3_S5_fEETnPFT0_RKS9_fEXadL_ZNS_21packed_fatrelu_kernelIS2_EES3_S5_fEELb1ELb1EEEvPS3_PS4_if
	.p2align	8
	.type	_ZN4vllm29act_and_mul_kernel_with_paramIf15HIP_vector_typeIfLj2EETnPFT_RKS3_fEXadL_ZNS_14fatrelu_kernelIfEES3_S5_fEETnPFT0_RKS9_fEXadL_ZNS_21packed_fatrelu_kernelIS2_EES3_S5_fEELb1ELb1EEEvPS3_PS4_if,@function
_ZN4vllm29act_and_mul_kernel_with_paramIf15HIP_vector_typeIfLj2EETnPFT_RKS3_fEXadL_ZNS_14fatrelu_kernelIfEES3_S5_fEETnPFT0_RKS9_fEXadL_ZNS_21packed_fatrelu_kernelIS2_EES3_S5_fEELb1ELb1EEEvPS3_PS4_if: ; @_ZN4vllm29act_and_mul_kernel_with_paramIf15HIP_vector_typeIfLj2EETnPFT_RKS3_fEXadL_ZNS_14fatrelu_kernelIfEES3_S5_fEETnPFT0_RKS9_fEXadL_ZNS_21packed_fatrelu_kernelIS2_EES3_S5_fEELb1ELb1EEEvPS3_PS4_if
; %bb.0:
	s_load_b32 s2, s[0:1], 0x10
	s_mov_b32 s32, 0
	s_waitcnt lgkmcnt(0)
	s_ashr_i32 s3, s2, 31
	s_delay_alu instid0(SALU_CYCLE_1) | instskip(NEXT) | instid1(SALU_CYCLE_1)
	s_lshr_b32 s3, s3, 29
	s_add_i32 s2, s2, s3
	s_delay_alu instid0(SALU_CYCLE_1) | instskip(NEXT) | instid1(SALU_CYCLE_1)
	s_ashr_i32 s2, s2, 3
	v_cmp_gt_i32_e32 vcc_lo, s2, v0
	s_and_saveexec_b32 s2, vcc_lo
	s_cbranch_execz .LBB47_2
; %bb.1:
	s_add_u32 s8, s0, 24
	s_addc_u32 s9, s1, 0
	s_getpc_b64 s[0:1]
	s_add_u32 s0, s0, .str@rel32@lo+4
	s_addc_u32 s1, s1, .str@rel32@hi+12
	s_getpc_b64 s[2:3]
	s_add_u32 s2, s2, __PRETTY_FUNCTION__._ZN4vllm5ld256ERNS_7u32x8_tEPKS0_@rel32@lo+4
	s_addc_u32 s3, s3, __PRETTY_FUNCTION__._ZN4vllm5ld256ERNS_7u32x8_tEPKS0_@rel32@hi+12
	v_dual_mov_b32 v0, s0 :: v_dual_mov_b32 v1, s1
	v_dual_mov_b32 v2, 0x93 :: v_dual_mov_b32 v3, s2
	v_mov_b32_e32 v4, s3
	s_getpc_b64 s[4:5]
	s_add_u32 s4, s4, __assert_fail@rel32@lo+4
	s_addc_u32 s5, s5, __assert_fail@rel32@hi+12
	s_delay_alu instid0(SALU_CYCLE_1)
	s_swappc_b64 s[30:31], s[4:5]
	; divergent unreachable
.LBB47_2:
	s_endpgm
	.section	.rodata,"a",@progbits
	.p2align	6, 0x0
	.amdhsa_kernel _ZN4vllm29act_and_mul_kernel_with_paramIf15HIP_vector_typeIfLj2EETnPFT_RKS3_fEXadL_ZNS_14fatrelu_kernelIfEES3_S5_fEETnPFT0_RKS9_fEXadL_ZNS_21packed_fatrelu_kernelIS2_EES3_S5_fEELb1ELb1EEEvPS3_PS4_if
		.amdhsa_group_segment_fixed_size 0
		.amdhsa_private_segment_fixed_size 64
		.amdhsa_kernarg_size 280
		.amdhsa_user_sgpr_count 15
		.amdhsa_user_sgpr_dispatch_ptr 0
		.amdhsa_user_sgpr_queue_ptr 0
		.amdhsa_user_sgpr_kernarg_segment_ptr 1
		.amdhsa_user_sgpr_dispatch_id 0
		.amdhsa_user_sgpr_private_segment_size 0
		.amdhsa_wavefront_size32 1
		.amdhsa_uses_dynamic_stack 0
		.amdhsa_enable_private_segment 1
		.amdhsa_system_sgpr_workgroup_id_x 1
		.amdhsa_system_sgpr_workgroup_id_y 0
		.amdhsa_system_sgpr_workgroup_id_z 0
		.amdhsa_system_sgpr_workgroup_info 0
		.amdhsa_system_vgpr_workitem_id 0
		.amdhsa_next_free_vgpr 51
		.amdhsa_next_free_sgpr 34
		.amdhsa_reserve_vcc 1
		.amdhsa_float_round_mode_32 0
		.amdhsa_float_round_mode_16_64 0
		.amdhsa_float_denorm_mode_32 3
		.amdhsa_float_denorm_mode_16_64 3
		.amdhsa_dx10_clamp 1
		.amdhsa_ieee_mode 1
		.amdhsa_fp16_overflow 0
		.amdhsa_workgroup_processor_mode 1
		.amdhsa_memory_ordered 1
		.amdhsa_forward_progress 0
		.amdhsa_shared_vgpr_count 0
		.amdhsa_exception_fp_ieee_invalid_op 0
		.amdhsa_exception_fp_denorm_src 0
		.amdhsa_exception_fp_ieee_div_zero 0
		.amdhsa_exception_fp_ieee_overflow 0
		.amdhsa_exception_fp_ieee_underflow 0
		.amdhsa_exception_fp_ieee_inexact 0
		.amdhsa_exception_int_div_zero 0
	.end_amdhsa_kernel
	.section	.text._ZN4vllm29act_and_mul_kernel_with_paramIf15HIP_vector_typeIfLj2EETnPFT_RKS3_fEXadL_ZNS_14fatrelu_kernelIfEES3_S5_fEETnPFT0_RKS9_fEXadL_ZNS_21packed_fatrelu_kernelIS2_EES3_S5_fEELb1ELb1EEEvPS3_PS4_if,"axG",@progbits,_ZN4vllm29act_and_mul_kernel_with_paramIf15HIP_vector_typeIfLj2EETnPFT_RKS3_fEXadL_ZNS_14fatrelu_kernelIfEES3_S5_fEETnPFT0_RKS9_fEXadL_ZNS_21packed_fatrelu_kernelIS2_EES3_S5_fEELb1ELb1EEEvPS3_PS4_if,comdat
.Lfunc_end47:
	.size	_ZN4vllm29act_and_mul_kernel_with_paramIf15HIP_vector_typeIfLj2EETnPFT_RKS3_fEXadL_ZNS_14fatrelu_kernelIfEES3_S5_fEETnPFT0_RKS9_fEXadL_ZNS_21packed_fatrelu_kernelIS2_EES3_S5_fEELb1ELb1EEEvPS3_PS4_if, .Lfunc_end47-_ZN4vllm29act_and_mul_kernel_with_paramIf15HIP_vector_typeIfLj2EETnPFT_RKS3_fEXadL_ZNS_14fatrelu_kernelIfEES3_S5_fEETnPFT0_RKS9_fEXadL_ZNS_21packed_fatrelu_kernelIS2_EES3_S5_fEELb1ELb1EEEvPS3_PS4_if
                                        ; -- End function
	.section	.AMDGPU.csdata,"",@progbits
; Kernel info:
; codeLenInByte = 156
; NumSgprs: 36
; NumVgprs: 51
; ScratchSize: 64
; MemoryBound: 0
; FloatMode: 240
; IeeeMode: 1
; LDSByteSize: 0 bytes/workgroup (compile time only)
; SGPRBlocks: 4
; VGPRBlocks: 6
; NumSGPRsForWavesPerEU: 36
; NumVGPRsForWavesPerEU: 51
; Occupancy: 16
; WaveLimiterHint : 1
; COMPUTE_PGM_RSRC2:SCRATCH_EN: 1
; COMPUTE_PGM_RSRC2:USER_SGPR: 15
; COMPUTE_PGM_RSRC2:TRAP_HANDLER: 0
; COMPUTE_PGM_RSRC2:TGID_X_EN: 1
; COMPUTE_PGM_RSRC2:TGID_Y_EN: 0
; COMPUTE_PGM_RSRC2:TGID_Z_EN: 0
; COMPUTE_PGM_RSRC2:TIDIG_COMP_CNT: 0
	.section	.text._ZN4vllm29act_and_mul_kernel_with_paramIN3c104HalfE7__half2TnPFT_RKS4_fEXadL_ZNS_14fatrelu_kernelIS2_EES4_S6_fEETnPFT0_RKSA_fEXadL_ZNS_21packed_fatrelu_kernelIS3_EES4_S6_fEELb1ELb1EEEvPS4_PS5_if,"axG",@progbits,_ZN4vllm29act_and_mul_kernel_with_paramIN3c104HalfE7__half2TnPFT_RKS4_fEXadL_ZNS_14fatrelu_kernelIS2_EES4_S6_fEETnPFT0_RKSA_fEXadL_ZNS_21packed_fatrelu_kernelIS3_EES4_S6_fEELb1ELb1EEEvPS4_PS5_if,comdat
	.protected	_ZN4vllm29act_and_mul_kernel_with_paramIN3c104HalfE7__half2TnPFT_RKS4_fEXadL_ZNS_14fatrelu_kernelIS2_EES4_S6_fEETnPFT0_RKSA_fEXadL_ZNS_21packed_fatrelu_kernelIS3_EES4_S6_fEELb1ELb1EEEvPS4_PS5_if ; -- Begin function _ZN4vllm29act_and_mul_kernel_with_paramIN3c104HalfE7__half2TnPFT_RKS4_fEXadL_ZNS_14fatrelu_kernelIS2_EES4_S6_fEETnPFT0_RKSA_fEXadL_ZNS_21packed_fatrelu_kernelIS3_EES4_S6_fEELb1ELb1EEEvPS4_PS5_if
	.globl	_ZN4vllm29act_and_mul_kernel_with_paramIN3c104HalfE7__half2TnPFT_RKS4_fEXadL_ZNS_14fatrelu_kernelIS2_EES4_S6_fEETnPFT0_RKSA_fEXadL_ZNS_21packed_fatrelu_kernelIS3_EES4_S6_fEELb1ELb1EEEvPS4_PS5_if
	.p2align	8
	.type	_ZN4vllm29act_and_mul_kernel_with_paramIN3c104HalfE7__half2TnPFT_RKS4_fEXadL_ZNS_14fatrelu_kernelIS2_EES4_S6_fEETnPFT0_RKSA_fEXadL_ZNS_21packed_fatrelu_kernelIS3_EES4_S6_fEELb1ELb1EEEvPS4_PS5_if,@function
_ZN4vllm29act_and_mul_kernel_with_paramIN3c104HalfE7__half2TnPFT_RKS4_fEXadL_ZNS_14fatrelu_kernelIS2_EES4_S6_fEETnPFT0_RKSA_fEXadL_ZNS_21packed_fatrelu_kernelIS3_EES4_S6_fEELb1ELb1EEEvPS4_PS5_if: ; @_ZN4vllm29act_and_mul_kernel_with_paramIN3c104HalfE7__half2TnPFT_RKS4_fEXadL_ZNS_14fatrelu_kernelIS2_EES4_S6_fEETnPFT0_RKSA_fEXadL_ZNS_21packed_fatrelu_kernelIS3_EES4_S6_fEELb1ELb1EEEvPS4_PS5_if
; %bb.0:
	s_load_b32 s2, s[0:1], 0x10
	s_mov_b32 s32, 0
	s_waitcnt lgkmcnt(0)
	s_ashr_i32 s3, s2, 31
	s_delay_alu instid0(SALU_CYCLE_1) | instskip(NEXT) | instid1(SALU_CYCLE_1)
	s_lshr_b32 s3, s3, 28
	s_add_i32 s2, s2, s3
	s_delay_alu instid0(SALU_CYCLE_1) | instskip(NEXT) | instid1(SALU_CYCLE_1)
	s_ashr_i32 s2, s2, 4
	v_cmp_gt_i32_e32 vcc_lo, s2, v0
	s_and_saveexec_b32 s2, vcc_lo
	s_cbranch_execz .LBB48_2
; %bb.1:
	s_add_u32 s8, s0, 24
	s_addc_u32 s9, s1, 0
	s_getpc_b64 s[0:1]
	s_add_u32 s0, s0, .str@rel32@lo+4
	s_addc_u32 s1, s1, .str@rel32@hi+12
	s_getpc_b64 s[2:3]
	s_add_u32 s2, s2, __PRETTY_FUNCTION__._ZN4vllm5ld256ERNS_7u32x8_tEPKS0_@rel32@lo+4
	s_addc_u32 s3, s3, __PRETTY_FUNCTION__._ZN4vllm5ld256ERNS_7u32x8_tEPKS0_@rel32@hi+12
	v_dual_mov_b32 v0, s0 :: v_dual_mov_b32 v1, s1
	v_dual_mov_b32 v2, 0x93 :: v_dual_mov_b32 v3, s2
	v_mov_b32_e32 v4, s3
	s_getpc_b64 s[4:5]
	s_add_u32 s4, s4, __assert_fail@rel32@lo+4
	s_addc_u32 s5, s5, __assert_fail@rel32@hi+12
	s_delay_alu instid0(SALU_CYCLE_1)
	s_swappc_b64 s[30:31], s[4:5]
	; divergent unreachable
.LBB48_2:
	s_endpgm
	.section	.rodata,"a",@progbits
	.p2align	6, 0x0
	.amdhsa_kernel _ZN4vllm29act_and_mul_kernel_with_paramIN3c104HalfE7__half2TnPFT_RKS4_fEXadL_ZNS_14fatrelu_kernelIS2_EES4_S6_fEETnPFT0_RKSA_fEXadL_ZNS_21packed_fatrelu_kernelIS3_EES4_S6_fEELb1ELb1EEEvPS4_PS5_if
		.amdhsa_group_segment_fixed_size 0
		.amdhsa_private_segment_fixed_size 64
		.amdhsa_kernarg_size 280
		.amdhsa_user_sgpr_count 15
		.amdhsa_user_sgpr_dispatch_ptr 0
		.amdhsa_user_sgpr_queue_ptr 0
		.amdhsa_user_sgpr_kernarg_segment_ptr 1
		.amdhsa_user_sgpr_dispatch_id 0
		.amdhsa_user_sgpr_private_segment_size 0
		.amdhsa_wavefront_size32 1
		.amdhsa_uses_dynamic_stack 0
		.amdhsa_enable_private_segment 1
		.amdhsa_system_sgpr_workgroup_id_x 1
		.amdhsa_system_sgpr_workgroup_id_y 0
		.amdhsa_system_sgpr_workgroup_id_z 0
		.amdhsa_system_sgpr_workgroup_info 0
		.amdhsa_system_vgpr_workitem_id 0
		.amdhsa_next_free_vgpr 51
		.amdhsa_next_free_sgpr 34
		.amdhsa_reserve_vcc 1
		.amdhsa_float_round_mode_32 0
		.amdhsa_float_round_mode_16_64 0
		.amdhsa_float_denorm_mode_32 3
		.amdhsa_float_denorm_mode_16_64 3
		.amdhsa_dx10_clamp 1
		.amdhsa_ieee_mode 1
		.amdhsa_fp16_overflow 0
		.amdhsa_workgroup_processor_mode 1
		.amdhsa_memory_ordered 1
		.amdhsa_forward_progress 0
		.amdhsa_shared_vgpr_count 0
		.amdhsa_exception_fp_ieee_invalid_op 0
		.amdhsa_exception_fp_denorm_src 0
		.amdhsa_exception_fp_ieee_div_zero 0
		.amdhsa_exception_fp_ieee_overflow 0
		.amdhsa_exception_fp_ieee_underflow 0
		.amdhsa_exception_fp_ieee_inexact 0
		.amdhsa_exception_int_div_zero 0
	.end_amdhsa_kernel
	.section	.text._ZN4vllm29act_and_mul_kernel_with_paramIN3c104HalfE7__half2TnPFT_RKS4_fEXadL_ZNS_14fatrelu_kernelIS2_EES4_S6_fEETnPFT0_RKSA_fEXadL_ZNS_21packed_fatrelu_kernelIS3_EES4_S6_fEELb1ELb1EEEvPS4_PS5_if,"axG",@progbits,_ZN4vllm29act_and_mul_kernel_with_paramIN3c104HalfE7__half2TnPFT_RKS4_fEXadL_ZNS_14fatrelu_kernelIS2_EES4_S6_fEETnPFT0_RKSA_fEXadL_ZNS_21packed_fatrelu_kernelIS3_EES4_S6_fEELb1ELb1EEEvPS4_PS5_if,comdat
.Lfunc_end48:
	.size	_ZN4vllm29act_and_mul_kernel_with_paramIN3c104HalfE7__half2TnPFT_RKS4_fEXadL_ZNS_14fatrelu_kernelIS2_EES4_S6_fEETnPFT0_RKSA_fEXadL_ZNS_21packed_fatrelu_kernelIS3_EES4_S6_fEELb1ELb1EEEvPS4_PS5_if, .Lfunc_end48-_ZN4vllm29act_and_mul_kernel_with_paramIN3c104HalfE7__half2TnPFT_RKS4_fEXadL_ZNS_14fatrelu_kernelIS2_EES4_S6_fEETnPFT0_RKSA_fEXadL_ZNS_21packed_fatrelu_kernelIS3_EES4_S6_fEELb1ELb1EEEvPS4_PS5_if
                                        ; -- End function
	.section	.AMDGPU.csdata,"",@progbits
; Kernel info:
; codeLenInByte = 156
; NumSgprs: 36
; NumVgprs: 51
; ScratchSize: 64
; MemoryBound: 0
; FloatMode: 240
; IeeeMode: 1
; LDSByteSize: 0 bytes/workgroup (compile time only)
; SGPRBlocks: 4
; VGPRBlocks: 6
; NumSGPRsForWavesPerEU: 36
; NumVGPRsForWavesPerEU: 51
; Occupancy: 16
; WaveLimiterHint : 1
; COMPUTE_PGM_RSRC2:SCRATCH_EN: 1
; COMPUTE_PGM_RSRC2:USER_SGPR: 15
; COMPUTE_PGM_RSRC2:TRAP_HANDLER: 0
; COMPUTE_PGM_RSRC2:TGID_X_EN: 1
; COMPUTE_PGM_RSRC2:TGID_Y_EN: 0
; COMPUTE_PGM_RSRC2:TGID_Z_EN: 0
; COMPUTE_PGM_RSRC2:TIDIG_COMP_CNT: 0
	.section	.text._ZN4vllm29act_and_mul_kernel_with_paramIN3c108BFloat16E15__hip_bfloat162TnPFT_RKS4_fEXadL_ZNS_14fatrelu_kernelIS2_EES4_S6_fEETnPFT0_RKSA_fEXadL_ZNS_21packed_fatrelu_kernelIS3_EES4_S6_fEELb1ELb1EEEvPS4_PS5_if,"axG",@progbits,_ZN4vllm29act_and_mul_kernel_with_paramIN3c108BFloat16E15__hip_bfloat162TnPFT_RKS4_fEXadL_ZNS_14fatrelu_kernelIS2_EES4_S6_fEETnPFT0_RKSA_fEXadL_ZNS_21packed_fatrelu_kernelIS3_EES4_S6_fEELb1ELb1EEEvPS4_PS5_if,comdat
	.protected	_ZN4vllm29act_and_mul_kernel_with_paramIN3c108BFloat16E15__hip_bfloat162TnPFT_RKS4_fEXadL_ZNS_14fatrelu_kernelIS2_EES4_S6_fEETnPFT0_RKSA_fEXadL_ZNS_21packed_fatrelu_kernelIS3_EES4_S6_fEELb1ELb1EEEvPS4_PS5_if ; -- Begin function _ZN4vllm29act_and_mul_kernel_with_paramIN3c108BFloat16E15__hip_bfloat162TnPFT_RKS4_fEXadL_ZNS_14fatrelu_kernelIS2_EES4_S6_fEETnPFT0_RKSA_fEXadL_ZNS_21packed_fatrelu_kernelIS3_EES4_S6_fEELb1ELb1EEEvPS4_PS5_if
	.globl	_ZN4vllm29act_and_mul_kernel_with_paramIN3c108BFloat16E15__hip_bfloat162TnPFT_RKS4_fEXadL_ZNS_14fatrelu_kernelIS2_EES4_S6_fEETnPFT0_RKSA_fEXadL_ZNS_21packed_fatrelu_kernelIS3_EES4_S6_fEELb1ELb1EEEvPS4_PS5_if
	.p2align	8
	.type	_ZN4vllm29act_and_mul_kernel_with_paramIN3c108BFloat16E15__hip_bfloat162TnPFT_RKS4_fEXadL_ZNS_14fatrelu_kernelIS2_EES4_S6_fEETnPFT0_RKSA_fEXadL_ZNS_21packed_fatrelu_kernelIS3_EES4_S6_fEELb1ELb1EEEvPS4_PS5_if,@function
_ZN4vllm29act_and_mul_kernel_with_paramIN3c108BFloat16E15__hip_bfloat162TnPFT_RKS4_fEXadL_ZNS_14fatrelu_kernelIS2_EES4_S6_fEETnPFT0_RKSA_fEXadL_ZNS_21packed_fatrelu_kernelIS3_EES4_S6_fEELb1ELb1EEEvPS4_PS5_if: ; @_ZN4vllm29act_and_mul_kernel_with_paramIN3c108BFloat16E15__hip_bfloat162TnPFT_RKS4_fEXadL_ZNS_14fatrelu_kernelIS2_EES4_S6_fEETnPFT0_RKSA_fEXadL_ZNS_21packed_fatrelu_kernelIS3_EES4_S6_fEELb1ELb1EEEvPS4_PS5_if
; %bb.0:
	s_load_b32 s2, s[0:1], 0x10
	s_mov_b32 s32, 0
	s_waitcnt lgkmcnt(0)
	s_ashr_i32 s3, s2, 31
	s_delay_alu instid0(SALU_CYCLE_1) | instskip(NEXT) | instid1(SALU_CYCLE_1)
	s_lshr_b32 s3, s3, 28
	s_add_i32 s2, s2, s3
	s_delay_alu instid0(SALU_CYCLE_1) | instskip(NEXT) | instid1(SALU_CYCLE_1)
	s_ashr_i32 s2, s2, 4
	v_cmp_gt_i32_e32 vcc_lo, s2, v0
	s_and_saveexec_b32 s2, vcc_lo
	s_cbranch_execz .LBB49_2
; %bb.1:
	s_add_u32 s8, s0, 24
	s_addc_u32 s9, s1, 0
	s_getpc_b64 s[0:1]
	s_add_u32 s0, s0, .str@rel32@lo+4
	s_addc_u32 s1, s1, .str@rel32@hi+12
	s_getpc_b64 s[2:3]
	s_add_u32 s2, s2, __PRETTY_FUNCTION__._ZN4vllm5ld256ERNS_7u32x8_tEPKS0_@rel32@lo+4
	s_addc_u32 s3, s3, __PRETTY_FUNCTION__._ZN4vllm5ld256ERNS_7u32x8_tEPKS0_@rel32@hi+12
	v_dual_mov_b32 v0, s0 :: v_dual_mov_b32 v1, s1
	v_dual_mov_b32 v2, 0x93 :: v_dual_mov_b32 v3, s2
	v_mov_b32_e32 v4, s3
	s_getpc_b64 s[4:5]
	s_add_u32 s4, s4, __assert_fail@rel32@lo+4
	s_addc_u32 s5, s5, __assert_fail@rel32@hi+12
	s_delay_alu instid0(SALU_CYCLE_1)
	s_swappc_b64 s[30:31], s[4:5]
	; divergent unreachable
.LBB49_2:
	s_endpgm
	.section	.rodata,"a",@progbits
	.p2align	6, 0x0
	.amdhsa_kernel _ZN4vllm29act_and_mul_kernel_with_paramIN3c108BFloat16E15__hip_bfloat162TnPFT_RKS4_fEXadL_ZNS_14fatrelu_kernelIS2_EES4_S6_fEETnPFT0_RKSA_fEXadL_ZNS_21packed_fatrelu_kernelIS3_EES4_S6_fEELb1ELb1EEEvPS4_PS5_if
		.amdhsa_group_segment_fixed_size 0
		.amdhsa_private_segment_fixed_size 64
		.amdhsa_kernarg_size 280
		.amdhsa_user_sgpr_count 15
		.amdhsa_user_sgpr_dispatch_ptr 0
		.amdhsa_user_sgpr_queue_ptr 0
		.amdhsa_user_sgpr_kernarg_segment_ptr 1
		.amdhsa_user_sgpr_dispatch_id 0
		.amdhsa_user_sgpr_private_segment_size 0
		.amdhsa_wavefront_size32 1
		.amdhsa_uses_dynamic_stack 0
		.amdhsa_enable_private_segment 1
		.amdhsa_system_sgpr_workgroup_id_x 1
		.amdhsa_system_sgpr_workgroup_id_y 0
		.amdhsa_system_sgpr_workgroup_id_z 0
		.amdhsa_system_sgpr_workgroup_info 0
		.amdhsa_system_vgpr_workitem_id 0
		.amdhsa_next_free_vgpr 51
		.amdhsa_next_free_sgpr 34
		.amdhsa_reserve_vcc 1
		.amdhsa_float_round_mode_32 0
		.amdhsa_float_round_mode_16_64 0
		.amdhsa_float_denorm_mode_32 3
		.amdhsa_float_denorm_mode_16_64 3
		.amdhsa_dx10_clamp 1
		.amdhsa_ieee_mode 1
		.amdhsa_fp16_overflow 0
		.amdhsa_workgroup_processor_mode 1
		.amdhsa_memory_ordered 1
		.amdhsa_forward_progress 0
		.amdhsa_shared_vgpr_count 0
		.amdhsa_exception_fp_ieee_invalid_op 0
		.amdhsa_exception_fp_denorm_src 0
		.amdhsa_exception_fp_ieee_div_zero 0
		.amdhsa_exception_fp_ieee_overflow 0
		.amdhsa_exception_fp_ieee_underflow 0
		.amdhsa_exception_fp_ieee_inexact 0
		.amdhsa_exception_int_div_zero 0
	.end_amdhsa_kernel
	.section	.text._ZN4vllm29act_and_mul_kernel_with_paramIN3c108BFloat16E15__hip_bfloat162TnPFT_RKS4_fEXadL_ZNS_14fatrelu_kernelIS2_EES4_S6_fEETnPFT0_RKSA_fEXadL_ZNS_21packed_fatrelu_kernelIS3_EES4_S6_fEELb1ELb1EEEvPS4_PS5_if,"axG",@progbits,_ZN4vllm29act_and_mul_kernel_with_paramIN3c108BFloat16E15__hip_bfloat162TnPFT_RKS4_fEXadL_ZNS_14fatrelu_kernelIS2_EES4_S6_fEETnPFT0_RKSA_fEXadL_ZNS_21packed_fatrelu_kernelIS3_EES4_S6_fEELb1ELb1EEEvPS4_PS5_if,comdat
.Lfunc_end49:
	.size	_ZN4vllm29act_and_mul_kernel_with_paramIN3c108BFloat16E15__hip_bfloat162TnPFT_RKS4_fEXadL_ZNS_14fatrelu_kernelIS2_EES4_S6_fEETnPFT0_RKSA_fEXadL_ZNS_21packed_fatrelu_kernelIS3_EES4_S6_fEELb1ELb1EEEvPS4_PS5_if, .Lfunc_end49-_ZN4vllm29act_and_mul_kernel_with_paramIN3c108BFloat16E15__hip_bfloat162TnPFT_RKS4_fEXadL_ZNS_14fatrelu_kernelIS2_EES4_S6_fEETnPFT0_RKSA_fEXadL_ZNS_21packed_fatrelu_kernelIS3_EES4_S6_fEELb1ELb1EEEvPS4_PS5_if
                                        ; -- End function
	.section	.AMDGPU.csdata,"",@progbits
; Kernel info:
; codeLenInByte = 156
; NumSgprs: 36
; NumVgprs: 51
; ScratchSize: 64
; MemoryBound: 0
; FloatMode: 240
; IeeeMode: 1
; LDSByteSize: 0 bytes/workgroup (compile time only)
; SGPRBlocks: 4
; VGPRBlocks: 6
; NumSGPRsForWavesPerEU: 36
; NumVGPRsForWavesPerEU: 51
; Occupancy: 16
; WaveLimiterHint : 1
; COMPUTE_PGM_RSRC2:SCRATCH_EN: 1
; COMPUTE_PGM_RSRC2:USER_SGPR: 15
; COMPUTE_PGM_RSRC2:TRAP_HANDLER: 0
; COMPUTE_PGM_RSRC2:TGID_X_EN: 1
; COMPUTE_PGM_RSRC2:TGID_Y_EN: 0
; COMPUTE_PGM_RSRC2:TGID_Z_EN: 0
; COMPUTE_PGM_RSRC2:TIDIG_COMP_CNT: 0
	.section	.text._ZN4vllm29act_and_mul_kernel_with_paramIf15HIP_vector_typeIfLj2EETnPFT_RKS3_fEXadL_ZNS_14fatrelu_kernelIfEES3_S5_fEETnPFT0_RKS9_fEXadL_ZNS_21packed_fatrelu_kernelIS2_EES3_S5_fEELb1ELb0EEEvPS3_PS4_if,"axG",@progbits,_ZN4vllm29act_and_mul_kernel_with_paramIf15HIP_vector_typeIfLj2EETnPFT_RKS3_fEXadL_ZNS_14fatrelu_kernelIfEES3_S5_fEETnPFT0_RKS9_fEXadL_ZNS_21packed_fatrelu_kernelIS2_EES3_S5_fEELb1ELb0EEEvPS3_PS4_if,comdat
	.protected	_ZN4vllm29act_and_mul_kernel_with_paramIf15HIP_vector_typeIfLj2EETnPFT_RKS3_fEXadL_ZNS_14fatrelu_kernelIfEES3_S5_fEETnPFT0_RKS9_fEXadL_ZNS_21packed_fatrelu_kernelIS2_EES3_S5_fEELb1ELb0EEEvPS3_PS4_if ; -- Begin function _ZN4vllm29act_and_mul_kernel_with_paramIf15HIP_vector_typeIfLj2EETnPFT_RKS3_fEXadL_ZNS_14fatrelu_kernelIfEES3_S5_fEETnPFT0_RKS9_fEXadL_ZNS_21packed_fatrelu_kernelIS2_EES3_S5_fEELb1ELb0EEEvPS3_PS4_if
	.globl	_ZN4vllm29act_and_mul_kernel_with_paramIf15HIP_vector_typeIfLj2EETnPFT_RKS3_fEXadL_ZNS_14fatrelu_kernelIfEES3_S5_fEETnPFT0_RKS9_fEXadL_ZNS_21packed_fatrelu_kernelIS2_EES3_S5_fEELb1ELb0EEEvPS3_PS4_if
	.p2align	8
	.type	_ZN4vllm29act_and_mul_kernel_with_paramIf15HIP_vector_typeIfLj2EETnPFT_RKS3_fEXadL_ZNS_14fatrelu_kernelIfEES3_S5_fEETnPFT0_RKS9_fEXadL_ZNS_21packed_fatrelu_kernelIS2_EES3_S5_fEELb1ELb0EEEvPS3_PS4_if,@function
_ZN4vllm29act_and_mul_kernel_with_paramIf15HIP_vector_typeIfLj2EETnPFT_RKS3_fEXadL_ZNS_14fatrelu_kernelIfEES3_S5_fEETnPFT0_RKS9_fEXadL_ZNS_21packed_fatrelu_kernelIS2_EES3_S5_fEELb1ELb0EEEvPS3_PS4_if: ; @_ZN4vllm29act_and_mul_kernel_with_paramIf15HIP_vector_typeIfLj2EETnPFT_RKS3_fEXadL_ZNS_14fatrelu_kernelIfEES3_S5_fEETnPFT0_RKS9_fEXadL_ZNS_21packed_fatrelu_kernelIS2_EES3_S5_fEELb1ELb0EEEvPS3_PS4_if
; %bb.0:
	s_load_b64 s[2:3], s[0:1], 0x10
	s_waitcnt lgkmcnt(0)
	s_ashr_i32 s5, s2, 31
	s_delay_alu instid0(SALU_CYCLE_1) | instskip(NEXT) | instid1(SALU_CYCLE_1)
	s_lshr_b32 s4, s5, 30
	s_add_i32 s4, s2, s4
	s_delay_alu instid0(SALU_CYCLE_1)
	s_ashr_i32 s6, s4, 2
	s_mov_b32 s4, exec_lo
	v_cmpx_gt_i32_e64 s6, v0
	s_cbranch_execz .LBB50_3
; %bb.1:
	s_clause 0x1
	s_load_b32 s7, s[0:1], 0x24
	s_load_b128 s[8:11], s[0:1], 0x0
	s_mul_i32 s12, s15, s2
	s_mov_b32 s1, 0
	s_lshl_b32 s0, s12, 1
	v_lshlrev_b32_e32 v5, 4, v0
	s_lshl_b64 s[14:15], s[0:1], 2
	s_mov_b32 s13, s1
	s_mov_b32 s4, s2
	s_waitcnt lgkmcnt(0)
	s_and_b32 s0, s7, 0xffff
	s_add_u32 s7, s10, s14
	s_addc_u32 s14, s11, s15
	v_add_co_u32 v1, s7, s7, v5
	s_lshl_b64 s[10:11], s[12:13], 2
	s_lshl_b32 s2, s0, 4
	s_lshl_b64 s[4:5], s[4:5], 2
	v_add_co_ci_u32_e64 v2, null, s14, 0, s7
	s_add_u32 s7, s8, s10
	s_addc_u32 s8, s9, s11
	v_add_co_u32 v3, vcc_lo, v1, s4
	v_add_co_u32 v5, s4, s7, v5
	v_add_co_ci_u32_e32 v4, vcc_lo, s5, v2, vcc_lo
	v_add_co_ci_u32_e64 v6, null, s8, 0, s4
	s_mov_b64 s[4:5], 0
	s_set_inst_prefetch_distance 0x1
	.p2align	6
.LBB50_2:                               ; =>This Inner Loop Header: Depth=1
	v_add_co_u32 v7, vcc_lo, v1, s4
	v_add_co_ci_u32_e32 v8, vcc_lo, s5, v2, vcc_lo
	v_add_co_u32 v11, vcc_lo, v3, s4
	v_add_co_ci_u32_e32 v12, vcc_lo, s5, v4, vcc_lo
	v_add_co_u32 v15, vcc_lo, v5, s4
	s_clause 0x1
	global_load_b128 v[7:10], v[7:8], off
	global_load_b128 v[11:14], v[11:12], off
	v_add_co_ci_u32_e32 v16, vcc_lo, s5, v6, vcc_lo
	s_add_u32 s4, s4, s2
	s_addc_u32 s5, s5, 0
	s_waitcnt vmcnt(1)
	v_cmp_lt_f32_e32 vcc_lo, s3, v7
	v_dual_cndmask_b32 v7, 0, v7 :: v_dual_add_nc_u32 v0, s0, v0
	v_cmp_lt_f32_e32 vcc_lo, s3, v8
	s_waitcnt vmcnt(0)
	s_delay_alu instid0(VALU_DEP_2) | instskip(SKIP_3) | instid1(VALU_DEP_2)
	v_dual_mul_f32 v7, v7, v11 :: v_dual_cndmask_b32 v8, 0, v8
	v_cmp_lt_f32_e32 vcc_lo, s3, v9
	v_cndmask_b32_e32 v9, 0, v9, vcc_lo
	v_cmp_lt_f32_e32 vcc_lo, s3, v10
	v_dual_mul_f32 v8, v8, v12 :: v_dual_mul_f32 v9, v9, v13
	v_cndmask_b32_e32 v10, 0, v10, vcc_lo
	v_cmp_le_i32_e32 vcc_lo, s6, v0
	s_delay_alu instid0(VALU_DEP_2)
	v_mul_f32_e32 v10, v10, v14
	s_or_b32 s1, vcc_lo, s1
	global_store_b128 v[15:16], v[7:10], off
	s_and_not1_b32 exec_lo, exec_lo, s1
	s_cbranch_execnz .LBB50_2
.LBB50_3:
	s_set_inst_prefetch_distance 0x2
	s_nop 0
	s_sendmsg sendmsg(MSG_DEALLOC_VGPRS)
	s_endpgm
	.section	.rodata,"a",@progbits
	.p2align	6, 0x0
	.amdhsa_kernel _ZN4vllm29act_and_mul_kernel_with_paramIf15HIP_vector_typeIfLj2EETnPFT_RKS3_fEXadL_ZNS_14fatrelu_kernelIfEES3_S5_fEETnPFT0_RKS9_fEXadL_ZNS_21packed_fatrelu_kernelIS2_EES3_S5_fEELb1ELb0EEEvPS3_PS4_if
		.amdhsa_group_segment_fixed_size 0
		.amdhsa_private_segment_fixed_size 0
		.amdhsa_kernarg_size 280
		.amdhsa_user_sgpr_count 15
		.amdhsa_user_sgpr_dispatch_ptr 0
		.amdhsa_user_sgpr_queue_ptr 0
		.amdhsa_user_sgpr_kernarg_segment_ptr 1
		.amdhsa_user_sgpr_dispatch_id 0
		.amdhsa_user_sgpr_private_segment_size 0
		.amdhsa_wavefront_size32 1
		.amdhsa_uses_dynamic_stack 0
		.amdhsa_enable_private_segment 0
		.amdhsa_system_sgpr_workgroup_id_x 1
		.amdhsa_system_sgpr_workgroup_id_y 0
		.amdhsa_system_sgpr_workgroup_id_z 0
		.amdhsa_system_sgpr_workgroup_info 0
		.amdhsa_system_vgpr_workitem_id 0
		.amdhsa_next_free_vgpr 17
		.amdhsa_next_free_sgpr 16
		.amdhsa_reserve_vcc 1
		.amdhsa_float_round_mode_32 0
		.amdhsa_float_round_mode_16_64 0
		.amdhsa_float_denorm_mode_32 3
		.amdhsa_float_denorm_mode_16_64 3
		.amdhsa_dx10_clamp 1
		.amdhsa_ieee_mode 1
		.amdhsa_fp16_overflow 0
		.amdhsa_workgroup_processor_mode 1
		.amdhsa_memory_ordered 1
		.amdhsa_forward_progress 0
		.amdhsa_shared_vgpr_count 0
		.amdhsa_exception_fp_ieee_invalid_op 0
		.amdhsa_exception_fp_denorm_src 0
		.amdhsa_exception_fp_ieee_div_zero 0
		.amdhsa_exception_fp_ieee_overflow 0
		.amdhsa_exception_fp_ieee_underflow 0
		.amdhsa_exception_fp_ieee_inexact 0
		.amdhsa_exception_int_div_zero 0
	.end_amdhsa_kernel
	.section	.text._ZN4vllm29act_and_mul_kernel_with_paramIf15HIP_vector_typeIfLj2EETnPFT_RKS3_fEXadL_ZNS_14fatrelu_kernelIfEES3_S5_fEETnPFT0_RKS9_fEXadL_ZNS_21packed_fatrelu_kernelIS2_EES3_S5_fEELb1ELb0EEEvPS3_PS4_if,"axG",@progbits,_ZN4vllm29act_and_mul_kernel_with_paramIf15HIP_vector_typeIfLj2EETnPFT_RKS3_fEXadL_ZNS_14fatrelu_kernelIfEES3_S5_fEETnPFT0_RKS9_fEXadL_ZNS_21packed_fatrelu_kernelIS2_EES3_S5_fEELb1ELb0EEEvPS3_PS4_if,comdat
.Lfunc_end50:
	.size	_ZN4vllm29act_and_mul_kernel_with_paramIf15HIP_vector_typeIfLj2EETnPFT_RKS3_fEXadL_ZNS_14fatrelu_kernelIfEES3_S5_fEETnPFT0_RKS9_fEXadL_ZNS_21packed_fatrelu_kernelIS2_EES3_S5_fEELb1ELb0EEEvPS3_PS4_if, .Lfunc_end50-_ZN4vllm29act_and_mul_kernel_with_paramIf15HIP_vector_typeIfLj2EETnPFT_RKS3_fEXadL_ZNS_14fatrelu_kernelIfEES3_S5_fEETnPFT0_RKS9_fEXadL_ZNS_21packed_fatrelu_kernelIS2_EES3_S5_fEELb1ELb0EEEvPS3_PS4_if
                                        ; -- End function
	.section	.AMDGPU.csdata,"",@progbits
; Kernel info:
; codeLenInByte = 364
; NumSgprs: 18
; NumVgprs: 17
; ScratchSize: 0
; MemoryBound: 0
; FloatMode: 240
; IeeeMode: 1
; LDSByteSize: 0 bytes/workgroup (compile time only)
; SGPRBlocks: 2
; VGPRBlocks: 2
; NumSGPRsForWavesPerEU: 18
; NumVGPRsForWavesPerEU: 17
; Occupancy: 16
; WaveLimiterHint : 0
; COMPUTE_PGM_RSRC2:SCRATCH_EN: 0
; COMPUTE_PGM_RSRC2:USER_SGPR: 15
; COMPUTE_PGM_RSRC2:TRAP_HANDLER: 0
; COMPUTE_PGM_RSRC2:TGID_X_EN: 1
; COMPUTE_PGM_RSRC2:TGID_Y_EN: 0
; COMPUTE_PGM_RSRC2:TGID_Z_EN: 0
; COMPUTE_PGM_RSRC2:TIDIG_COMP_CNT: 0
	.section	.text._ZN4vllm29act_and_mul_kernel_with_paramIN3c104HalfE7__half2TnPFT_RKS4_fEXadL_ZNS_14fatrelu_kernelIS2_EES4_S6_fEETnPFT0_RKSA_fEXadL_ZNS_21packed_fatrelu_kernelIS3_EES4_S6_fEELb1ELb0EEEvPS4_PS5_if,"axG",@progbits,_ZN4vllm29act_and_mul_kernel_with_paramIN3c104HalfE7__half2TnPFT_RKS4_fEXadL_ZNS_14fatrelu_kernelIS2_EES4_S6_fEETnPFT0_RKSA_fEXadL_ZNS_21packed_fatrelu_kernelIS3_EES4_S6_fEELb1ELb0EEEvPS4_PS5_if,comdat
	.protected	_ZN4vllm29act_and_mul_kernel_with_paramIN3c104HalfE7__half2TnPFT_RKS4_fEXadL_ZNS_14fatrelu_kernelIS2_EES4_S6_fEETnPFT0_RKSA_fEXadL_ZNS_21packed_fatrelu_kernelIS3_EES4_S6_fEELb1ELb0EEEvPS4_PS5_if ; -- Begin function _ZN4vllm29act_and_mul_kernel_with_paramIN3c104HalfE7__half2TnPFT_RKS4_fEXadL_ZNS_14fatrelu_kernelIS2_EES4_S6_fEETnPFT0_RKSA_fEXadL_ZNS_21packed_fatrelu_kernelIS3_EES4_S6_fEELb1ELb0EEEvPS4_PS5_if
	.globl	_ZN4vllm29act_and_mul_kernel_with_paramIN3c104HalfE7__half2TnPFT_RKS4_fEXadL_ZNS_14fatrelu_kernelIS2_EES4_S6_fEETnPFT0_RKSA_fEXadL_ZNS_21packed_fatrelu_kernelIS3_EES4_S6_fEELb1ELb0EEEvPS4_PS5_if
	.p2align	8
	.type	_ZN4vllm29act_and_mul_kernel_with_paramIN3c104HalfE7__half2TnPFT_RKS4_fEXadL_ZNS_14fatrelu_kernelIS2_EES4_S6_fEETnPFT0_RKSA_fEXadL_ZNS_21packed_fatrelu_kernelIS3_EES4_S6_fEELb1ELb0EEEvPS4_PS5_if,@function
_ZN4vllm29act_and_mul_kernel_with_paramIN3c104HalfE7__half2TnPFT_RKS4_fEXadL_ZNS_14fatrelu_kernelIS2_EES4_S6_fEETnPFT0_RKSA_fEXadL_ZNS_21packed_fatrelu_kernelIS3_EES4_S6_fEELb1ELb0EEEvPS4_PS5_if: ; @_ZN4vllm29act_and_mul_kernel_with_paramIN3c104HalfE7__half2TnPFT_RKS4_fEXadL_ZNS_14fatrelu_kernelIS2_EES4_S6_fEETnPFT0_RKSA_fEXadL_ZNS_21packed_fatrelu_kernelIS3_EES4_S6_fEELb1ELb0EEEvPS4_PS5_if
; %bb.0:
	s_load_b64 s[2:3], s[0:1], 0x10
	s_waitcnt lgkmcnt(0)
	s_ashr_i32 s5, s2, 31
	s_delay_alu instid0(SALU_CYCLE_1) | instskip(NEXT) | instid1(SALU_CYCLE_1)
	s_lshr_b32 s4, s5, 29
	s_add_i32 s4, s2, s4
	s_delay_alu instid0(SALU_CYCLE_1)
	s_ashr_i32 s6, s4, 3
	s_mov_b32 s4, exec_lo
	v_cmpx_gt_i32_e64 s6, v0
	s_cbranch_execz .LBB51_3
; %bb.1:
	s_clause 0x1
	s_load_b32 s7, s[0:1], 0x24
	s_load_b128 s[8:11], s[0:1], 0x0
	s_mul_i32 s12, s15, s2
	s_mov_b32 s1, 0
	s_lshl_b32 s0, s12, 1
	v_lshlrev_b32_e32 v5, 4, v0
	s_lshl_b64 s[14:15], s[0:1], 1
	s_mov_b32 s13, s1
	s_mov_b32 s4, s2
	s_waitcnt lgkmcnt(0)
	s_and_b32 s0, s7, 0xffff
	s_add_u32 s7, s10, s14
	s_addc_u32 s14, s11, s15
	v_add_co_u32 v1, s7, s7, v5
	s_lshl_b64 s[10:11], s[12:13], 1
	s_lshl_b32 s2, s0, 4
	s_lshl_b64 s[4:5], s[4:5], 1
	v_add_co_ci_u32_e64 v2, null, s14, 0, s7
	s_add_u32 s7, s8, s10
	s_addc_u32 s8, s9, s11
	v_add_co_u32 v3, vcc_lo, v1, s4
	v_add_co_u32 v5, s4, s7, v5
	v_add_co_ci_u32_e32 v4, vcc_lo, s5, v2, vcc_lo
	v_add_co_ci_u32_e64 v6, null, s8, 0, s4
	s_mov_b64 s[4:5], 0
.LBB51_2:                               ; =>This Inner Loop Header: Depth=1
	s_delay_alu instid0(SALU_CYCLE_1)
	v_add_co_u32 v7, vcc_lo, v1, s4
	v_add_co_ci_u32_e32 v8, vcc_lo, s5, v2, vcc_lo
	v_add_co_u32 v11, vcc_lo, v3, s4
	v_add_co_ci_u32_e32 v12, vcc_lo, s5, v4, vcc_lo
	global_load_b128 v[7:10], v[7:8], off
	v_add_co_u32 v15, vcc_lo, v5, s4
	global_load_b128 v[11:14], v[11:12], off
	v_add_co_ci_u32_e32 v16, vcc_lo, s5, v6, vcc_lo
	v_add_nc_u32_e32 v0, s0, v0
	s_add_u32 s4, s4, s2
	s_addc_u32 s5, s5, 0
	s_waitcnt vmcnt(1)
	v_cvt_f32_f16_e32 v17, v7
	v_cvt_f32_f16_e32 v19, v8
	v_lshrrev_b32_e32 v18, 16, v7
	v_cvt_f32_f16_e32 v21, v9
	v_lshrrev_b32_e32 v20, 16, v8
	v_cmp_lt_f32_e32 vcc_lo, s3, v17
	v_cvt_f32_f16_e32 v23, v10
	v_lshrrev_b32_e32 v22, 16, v9
	v_cvt_f32_f16_e32 v25, v18
	v_lshrrev_b32_e32 v24, 16, v10
	v_cndmask_b32_e32 v7, 0, v7, vcc_lo
	v_cmp_lt_f32_e32 vcc_lo, s3, v19
	v_cvt_f32_f16_e32 v17, v20
	v_cvt_f32_f16_e32 v19, v22
	v_cndmask_b32_e32 v8, 0, v8, vcc_lo
	v_cmp_lt_f32_e32 vcc_lo, s3, v21
	v_cvt_f32_f16_e32 v21, v24
	v_cndmask_b32_e32 v9, 0, v9, vcc_lo
	v_cmp_lt_f32_e32 vcc_lo, s3, v23
	v_cndmask_b32_e32 v10, 0, v10, vcc_lo
	v_cmp_lt_f32_e32 vcc_lo, s3, v25
	;; [unrolled: 2-line block ×4, first 2 shown]
	s_delay_alu instid0(VALU_DEP_4) | instskip(NEXT) | instid1(VALU_DEP_3)
	v_perm_b32 v7, v18, v7, 0x5040100
	v_perm_b32 v8, v17, v8, 0x5040100
	v_cndmask_b32_e32 v19, 0, v22, vcc_lo
	v_cmp_lt_f32_e32 vcc_lo, s3, v21
	s_waitcnt vmcnt(0)
	v_pk_mul_f16 v7, v7, v11
	v_pk_mul_f16 v8, v8, v12
	v_cndmask_b32_e32 v20, 0, v24, vcc_lo
	v_perm_b32 v9, v19, v9, 0x5040100
	v_cmp_le_i32_e32 vcc_lo, s6, v0
	s_delay_alu instid0(VALU_DEP_3) | instskip(NEXT) | instid1(VALU_DEP_3)
	v_perm_b32 v10, v20, v10, 0x5040100
	v_pk_mul_f16 v9, v9, v13
	s_or_b32 s1, vcc_lo, s1
	s_delay_alu instid0(VALU_DEP_2)
	v_pk_mul_f16 v10, v10, v14
	global_store_b128 v[15:16], v[7:10], off
	s_and_not1_b32 exec_lo, exec_lo, s1
	s_cbranch_execnz .LBB51_2
.LBB51_3:
	s_nop 0
	s_sendmsg sendmsg(MSG_DEALLOC_VGPRS)
	s_endpgm
	.section	.rodata,"a",@progbits
	.p2align	6, 0x0
	.amdhsa_kernel _ZN4vllm29act_and_mul_kernel_with_paramIN3c104HalfE7__half2TnPFT_RKS4_fEXadL_ZNS_14fatrelu_kernelIS2_EES4_S6_fEETnPFT0_RKSA_fEXadL_ZNS_21packed_fatrelu_kernelIS3_EES4_S6_fEELb1ELb0EEEvPS4_PS5_if
		.amdhsa_group_segment_fixed_size 0
		.amdhsa_private_segment_fixed_size 0
		.amdhsa_kernarg_size 280
		.amdhsa_user_sgpr_count 15
		.amdhsa_user_sgpr_dispatch_ptr 0
		.amdhsa_user_sgpr_queue_ptr 0
		.amdhsa_user_sgpr_kernarg_segment_ptr 1
		.amdhsa_user_sgpr_dispatch_id 0
		.amdhsa_user_sgpr_private_segment_size 0
		.amdhsa_wavefront_size32 1
		.amdhsa_uses_dynamic_stack 0
		.amdhsa_enable_private_segment 0
		.amdhsa_system_sgpr_workgroup_id_x 1
		.amdhsa_system_sgpr_workgroup_id_y 0
		.amdhsa_system_sgpr_workgroup_id_z 0
		.amdhsa_system_sgpr_workgroup_info 0
		.amdhsa_system_vgpr_workitem_id 0
		.amdhsa_next_free_vgpr 26
		.amdhsa_next_free_sgpr 16
		.amdhsa_reserve_vcc 1
		.amdhsa_float_round_mode_32 0
		.amdhsa_float_round_mode_16_64 0
		.amdhsa_float_denorm_mode_32 3
		.amdhsa_float_denorm_mode_16_64 3
		.amdhsa_dx10_clamp 1
		.amdhsa_ieee_mode 1
		.amdhsa_fp16_overflow 0
		.amdhsa_workgroup_processor_mode 1
		.amdhsa_memory_ordered 1
		.amdhsa_forward_progress 0
		.amdhsa_shared_vgpr_count 0
		.amdhsa_exception_fp_ieee_invalid_op 0
		.amdhsa_exception_fp_denorm_src 0
		.amdhsa_exception_fp_ieee_div_zero 0
		.amdhsa_exception_fp_ieee_overflow 0
		.amdhsa_exception_fp_ieee_underflow 0
		.amdhsa_exception_fp_ieee_inexact 0
		.amdhsa_exception_int_div_zero 0
	.end_amdhsa_kernel
	.section	.text._ZN4vllm29act_and_mul_kernel_with_paramIN3c104HalfE7__half2TnPFT_RKS4_fEXadL_ZNS_14fatrelu_kernelIS2_EES4_S6_fEETnPFT0_RKSA_fEXadL_ZNS_21packed_fatrelu_kernelIS3_EES4_S6_fEELb1ELb0EEEvPS4_PS5_if,"axG",@progbits,_ZN4vllm29act_and_mul_kernel_with_paramIN3c104HalfE7__half2TnPFT_RKS4_fEXadL_ZNS_14fatrelu_kernelIS2_EES4_S6_fEETnPFT0_RKSA_fEXadL_ZNS_21packed_fatrelu_kernelIS3_EES4_S6_fEELb1ELb0EEEvPS4_PS5_if,comdat
.Lfunc_end51:
	.size	_ZN4vllm29act_and_mul_kernel_with_paramIN3c104HalfE7__half2TnPFT_RKS4_fEXadL_ZNS_14fatrelu_kernelIS2_EES4_S6_fEETnPFT0_RKSA_fEXadL_ZNS_21packed_fatrelu_kernelIS3_EES4_S6_fEELb1ELb0EEEvPS4_PS5_if, .Lfunc_end51-_ZN4vllm29act_and_mul_kernel_with_paramIN3c104HalfE7__half2TnPFT_RKS4_fEXadL_ZNS_14fatrelu_kernelIS2_EES4_S6_fEETnPFT0_RKSA_fEXadL_ZNS_21packed_fatrelu_kernelIS3_EES4_S6_fEELb1ELb0EEEvPS4_PS5_if
                                        ; -- End function
	.section	.AMDGPU.csdata,"",@progbits
; Kernel info:
; codeLenInByte = 504
; NumSgprs: 18
; NumVgprs: 26
; ScratchSize: 0
; MemoryBound: 0
; FloatMode: 240
; IeeeMode: 1
; LDSByteSize: 0 bytes/workgroup (compile time only)
; SGPRBlocks: 2
; VGPRBlocks: 3
; NumSGPRsForWavesPerEU: 18
; NumVGPRsForWavesPerEU: 26
; Occupancy: 16
; WaveLimiterHint : 0
; COMPUTE_PGM_RSRC2:SCRATCH_EN: 0
; COMPUTE_PGM_RSRC2:USER_SGPR: 15
; COMPUTE_PGM_RSRC2:TRAP_HANDLER: 0
; COMPUTE_PGM_RSRC2:TGID_X_EN: 1
; COMPUTE_PGM_RSRC2:TGID_Y_EN: 0
; COMPUTE_PGM_RSRC2:TGID_Z_EN: 0
; COMPUTE_PGM_RSRC2:TIDIG_COMP_CNT: 0
	.section	.text._ZN4vllm29act_and_mul_kernel_with_paramIN3c108BFloat16E15__hip_bfloat162TnPFT_RKS4_fEXadL_ZNS_14fatrelu_kernelIS2_EES4_S6_fEETnPFT0_RKSA_fEXadL_ZNS_21packed_fatrelu_kernelIS3_EES4_S6_fEELb1ELb0EEEvPS4_PS5_if,"axG",@progbits,_ZN4vllm29act_and_mul_kernel_with_paramIN3c108BFloat16E15__hip_bfloat162TnPFT_RKS4_fEXadL_ZNS_14fatrelu_kernelIS2_EES4_S6_fEETnPFT0_RKSA_fEXadL_ZNS_21packed_fatrelu_kernelIS3_EES4_S6_fEELb1ELb0EEEvPS4_PS5_if,comdat
	.protected	_ZN4vllm29act_and_mul_kernel_with_paramIN3c108BFloat16E15__hip_bfloat162TnPFT_RKS4_fEXadL_ZNS_14fatrelu_kernelIS2_EES4_S6_fEETnPFT0_RKSA_fEXadL_ZNS_21packed_fatrelu_kernelIS3_EES4_S6_fEELb1ELb0EEEvPS4_PS5_if ; -- Begin function _ZN4vllm29act_and_mul_kernel_with_paramIN3c108BFloat16E15__hip_bfloat162TnPFT_RKS4_fEXadL_ZNS_14fatrelu_kernelIS2_EES4_S6_fEETnPFT0_RKSA_fEXadL_ZNS_21packed_fatrelu_kernelIS3_EES4_S6_fEELb1ELb0EEEvPS4_PS5_if
	.globl	_ZN4vllm29act_and_mul_kernel_with_paramIN3c108BFloat16E15__hip_bfloat162TnPFT_RKS4_fEXadL_ZNS_14fatrelu_kernelIS2_EES4_S6_fEETnPFT0_RKSA_fEXadL_ZNS_21packed_fatrelu_kernelIS3_EES4_S6_fEELb1ELb0EEEvPS4_PS5_if
	.p2align	8
	.type	_ZN4vllm29act_and_mul_kernel_with_paramIN3c108BFloat16E15__hip_bfloat162TnPFT_RKS4_fEXadL_ZNS_14fatrelu_kernelIS2_EES4_S6_fEETnPFT0_RKSA_fEXadL_ZNS_21packed_fatrelu_kernelIS3_EES4_S6_fEELb1ELb0EEEvPS4_PS5_if,@function
_ZN4vllm29act_and_mul_kernel_with_paramIN3c108BFloat16E15__hip_bfloat162TnPFT_RKS4_fEXadL_ZNS_14fatrelu_kernelIS2_EES4_S6_fEETnPFT0_RKSA_fEXadL_ZNS_21packed_fatrelu_kernelIS3_EES4_S6_fEELb1ELb0EEEvPS4_PS5_if: ; @_ZN4vllm29act_and_mul_kernel_with_paramIN3c108BFloat16E15__hip_bfloat162TnPFT_RKS4_fEXadL_ZNS_14fatrelu_kernelIS2_EES4_S6_fEETnPFT0_RKSA_fEXadL_ZNS_21packed_fatrelu_kernelIS3_EES4_S6_fEELb1ELb0EEEvPS4_PS5_if
; %bb.0:
	s_load_b64 s[2:3], s[0:1], 0x10
	s_waitcnt lgkmcnt(0)
	s_ashr_i32 s5, s2, 31
	s_delay_alu instid0(SALU_CYCLE_1) | instskip(NEXT) | instid1(SALU_CYCLE_1)
	s_lshr_b32 s4, s5, 29
	s_add_i32 s4, s2, s4
	s_delay_alu instid0(SALU_CYCLE_1)
	s_ashr_i32 s6, s4, 3
	s_mov_b32 s4, exec_lo
	v_cmpx_gt_i32_e64 s6, v0
	s_cbranch_execz .LBB52_67
; %bb.1:
	s_clause 0x1
	s_load_b32 s7, s[0:1], 0x24
	s_load_b128 s[8:11], s[0:1], 0x0
	s_mul_i32 s12, s15, s2
	s_mov_b32 s1, 0
	s_lshl_b32 s0, s12, 1
	v_lshlrev_b32_e32 v1, 4, v0
	s_lshl_b64 s[14:15], s[0:1], 1
	s_mov_b32 s4, s2
	s_mov_b32 s13, s1
	s_waitcnt lgkmcnt(0)
	s_and_b32 s2, s7, 0xffff
	s_add_u32 s0, s10, s14
	s_addc_u32 s14, s11, s15
	v_add_co_u32 v9, s0, s0, v1
	s_lshl_b64 s[10:11], s[12:13], 1
	s_lshl_b32 s7, s2, 4
	s_lshl_b64 s[4:5], s[4:5], 1
	v_add_co_ci_u32_e64 v10, null, s14, 0, s0
	s_add_u32 s0, s8, s10
	s_addc_u32 s8, s9, s11
	v_add_co_u32 v11, vcc_lo, v9, s4
	v_add_co_u32 v13, s0, s0, v1
	v_add_co_ci_u32_e32 v12, vcc_lo, s5, v10, vcc_lo
	v_add_co_ci_u32_e64 v14, null, s8, 0, s0
	s_mov_b64 s[4:5], 0
	s_branch .LBB52_3
.LBB52_2:                               ;   in Loop: Header=BB52_3 Depth=1
	s_or_b32 exec_lo, exec_lo, s0
	v_add_nc_u32_e32 v0, s2, v0
	v_perm_b32 v1, v1, v5, 0x7060302
	v_add_co_u32 v5, s0, v13, s4
	v_perm_b32 v4, v4, v8, 0x7060302
	s_delay_alu instid0(VALU_DEP_4)
	v_cmp_le_i32_e32 vcc_lo, s6, v0
	v_perm_b32 v3, v3, v7, 0x7060302
	v_perm_b32 v2, v2, v6, 0x7060302
	v_add_co_ci_u32_e64 v6, s0, s5, v14, s0
	s_add_u32 s4, s4, s7
	s_addc_u32 s5, s5, 0
	s_or_b32 s1, vcc_lo, s1
	global_store_b128 v[5:6], v[1:4], off
	s_and_not1_b32 exec_lo, exec_lo, s1
	s_cbranch_execz .LBB52_67
.LBB52_3:                               ; =>This Inner Loop Header: Depth=1
	v_add_co_u32 v1, vcc_lo, v9, s4
	v_add_co_ci_u32_e32 v2, vcc_lo, s5, v10, vcc_lo
	global_load_b128 v[5:8], v[1:2], off
	v_add_co_u32 v1, vcc_lo, v11, s4
	v_add_co_ci_u32_e32 v2, vcc_lo, s5, v12, vcc_lo
	global_load_b128 v[1:4], v[1:2], off
	s_waitcnt vmcnt(1)
	v_lshlrev_b32_e32 v15, 16, v5
	s_delay_alu instid0(VALU_DEP_1) | instskip(SKIP_1) | instid1(VALU_DEP_1)
	v_cmp_lt_f32_e32 vcc_lo, s3, v15
	v_cndmask_b32_e32 v16, 0, v15, vcc_lo
	v_and_b32_e32 v15, 0x7f800000, v16
	s_delay_alu instid0(VALU_DEP_1) | instskip(SKIP_1) | instid1(SALU_CYCLE_1)
	v_cmp_ne_u32_e32 vcc_lo, 0x7f800000, v15
                                        ; implicit-def: $vgpr15
	s_and_saveexec_b32 s0, vcc_lo
	s_xor_b32 s0, exec_lo, s0
; %bb.4:                                ;   in Loop: Header=BB52_3 Depth=1
	v_bfe_u32 v15, v16, 16, 1
	s_delay_alu instid0(VALU_DEP_1)
	v_add3_u32 v15, v16, v15, 0x7fff
                                        ; implicit-def: $vgpr16
; %bb.5:                                ;   in Loop: Header=BB52_3 Depth=1
	s_and_not1_saveexec_b32 s0, s0
; %bb.6:                                ;   in Loop: Header=BB52_3 Depth=1
	v_and_b32_e32 v15, 0xffff, v16
	v_or_b32_e32 v17, 0x10000, v16
	s_delay_alu instid0(VALU_DEP_2) | instskip(NEXT) | instid1(VALU_DEP_2)
	v_cmp_eq_u32_e32 vcc_lo, 0, v15
	v_cndmask_b32_e32 v15, v17, v16, vcc_lo
; %bb.7:                                ;   in Loop: Header=BB52_3 Depth=1
	s_or_b32 exec_lo, exec_lo, s0
	v_and_b32_e32 v5, 0xffff0000, v5
	s_delay_alu instid0(VALU_DEP_1) | instskip(SKIP_1) | instid1(VALU_DEP_1)
	v_cmp_lt_f32_e32 vcc_lo, s3, v5
	v_cndmask_b32_e32 v5, 0, v5, vcc_lo
	v_and_b32_e32 v16, 0x7f800000, v5
	s_delay_alu instid0(VALU_DEP_1) | instskip(SKIP_1) | instid1(SALU_CYCLE_1)
	v_cmp_ne_u32_e32 vcc_lo, 0x7f800000, v16
                                        ; implicit-def: $vgpr16
	s_and_saveexec_b32 s0, vcc_lo
	s_xor_b32 s0, exec_lo, s0
; %bb.8:                                ;   in Loop: Header=BB52_3 Depth=1
	v_bfe_u32 v16, v5, 16, 1
	s_delay_alu instid0(VALU_DEP_1)
	v_add3_u32 v16, v5, v16, 0x7fff
                                        ; implicit-def: $vgpr5
; %bb.9:                                ;   in Loop: Header=BB52_3 Depth=1
	s_and_not1_saveexec_b32 s0, s0
; %bb.10:                               ;   in Loop: Header=BB52_3 Depth=1
	v_and_b32_e32 v16, 0xffff, v5
	v_or_b32_e32 v17, 0x10000, v5
	s_delay_alu instid0(VALU_DEP_2) | instskip(NEXT) | instid1(VALU_DEP_2)
	v_cmp_eq_u32_e32 vcc_lo, 0, v16
	v_cndmask_b32_e32 v16, v17, v5, vcc_lo
; %bb.11:                               ;   in Loop: Header=BB52_3 Depth=1
	s_or_b32 exec_lo, exec_lo, s0
	v_and_b32_e32 v5, 0xffff0000, v15
	s_waitcnt vmcnt(0)
	v_lshlrev_b32_e32 v15, 16, v1
	s_delay_alu instid0(VALU_DEP_1) | instskip(NEXT) | instid1(VALU_DEP_1)
	v_mul_f32_e32 v15, v5, v15
	v_and_b32_e32 v5, 0x7f800000, v15
	s_delay_alu instid0(VALU_DEP_1) | instskip(SKIP_1) | instid1(SALU_CYCLE_1)
	v_cmp_ne_u32_e32 vcc_lo, 0x7f800000, v5
                                        ; implicit-def: $vgpr5
	s_and_saveexec_b32 s0, vcc_lo
	s_xor_b32 s0, exec_lo, s0
; %bb.12:                               ;   in Loop: Header=BB52_3 Depth=1
	v_bfe_u32 v5, v15, 16, 1
	s_delay_alu instid0(VALU_DEP_1)
	v_add3_u32 v5, v15, v5, 0x7fff
                                        ; implicit-def: $vgpr15
; %bb.13:                               ;   in Loop: Header=BB52_3 Depth=1
	s_and_not1_saveexec_b32 s0, s0
; %bb.14:                               ;   in Loop: Header=BB52_3 Depth=1
	v_and_b32_e32 v5, 0xffff, v15
	v_or_b32_e32 v17, 0x10000, v15
	s_delay_alu instid0(VALU_DEP_2) | instskip(NEXT) | instid1(VALU_DEP_2)
	v_cmp_eq_u32_e32 vcc_lo, 0, v5
	v_cndmask_b32_e32 v5, v17, v15, vcc_lo
; %bb.15:                               ;   in Loop: Header=BB52_3 Depth=1
	s_or_b32 exec_lo, exec_lo, s0
	v_and_b32_e32 v15, 0xffff0000, v16
	v_and_b32_e32 v1, 0xffff0000, v1
	s_delay_alu instid0(VALU_DEP_1) | instskip(NEXT) | instid1(VALU_DEP_1)
	v_mul_f32_e32 v15, v15, v1
	v_and_b32_e32 v1, 0x7f800000, v15
	s_delay_alu instid0(VALU_DEP_1) | instskip(SKIP_1) | instid1(SALU_CYCLE_1)
	v_cmp_ne_u32_e32 vcc_lo, 0x7f800000, v1
                                        ; implicit-def: $vgpr1
	s_and_saveexec_b32 s0, vcc_lo
	s_xor_b32 s0, exec_lo, s0
; %bb.16:                               ;   in Loop: Header=BB52_3 Depth=1
	v_bfe_u32 v1, v15, 16, 1
	s_delay_alu instid0(VALU_DEP_1)
	v_add3_u32 v1, v15, v1, 0x7fff
                                        ; implicit-def: $vgpr15
; %bb.17:                               ;   in Loop: Header=BB52_3 Depth=1
	s_and_not1_saveexec_b32 s0, s0
; %bb.18:                               ;   in Loop: Header=BB52_3 Depth=1
	v_and_b32_e32 v1, 0xffff, v15
	v_or_b32_e32 v16, 0x10000, v15
	s_delay_alu instid0(VALU_DEP_2) | instskip(NEXT) | instid1(VALU_DEP_2)
	v_cmp_eq_u32_e32 vcc_lo, 0, v1
	v_cndmask_b32_e32 v1, v16, v15, vcc_lo
; %bb.19:                               ;   in Loop: Header=BB52_3 Depth=1
	s_or_b32 exec_lo, exec_lo, s0
	v_lshlrev_b32_e32 v15, 16, v6
	s_delay_alu instid0(VALU_DEP_1) | instskip(SKIP_1) | instid1(VALU_DEP_1)
	v_cmp_lt_f32_e32 vcc_lo, s3, v15
	v_cndmask_b32_e32 v16, 0, v15, vcc_lo
	v_and_b32_e32 v15, 0x7f800000, v16
	s_delay_alu instid0(VALU_DEP_1) | instskip(SKIP_1) | instid1(SALU_CYCLE_1)
	v_cmp_ne_u32_e32 vcc_lo, 0x7f800000, v15
                                        ; implicit-def: $vgpr15
	s_and_saveexec_b32 s0, vcc_lo
	s_xor_b32 s0, exec_lo, s0
; %bb.20:                               ;   in Loop: Header=BB52_3 Depth=1
	v_bfe_u32 v15, v16, 16, 1
	s_delay_alu instid0(VALU_DEP_1)
	v_add3_u32 v15, v16, v15, 0x7fff
                                        ; implicit-def: $vgpr16
; %bb.21:                               ;   in Loop: Header=BB52_3 Depth=1
	s_and_not1_saveexec_b32 s0, s0
; %bb.22:                               ;   in Loop: Header=BB52_3 Depth=1
	v_and_b32_e32 v15, 0xffff, v16
	v_or_b32_e32 v17, 0x10000, v16
	s_delay_alu instid0(VALU_DEP_2) | instskip(NEXT) | instid1(VALU_DEP_2)
	v_cmp_eq_u32_e32 vcc_lo, 0, v15
	v_cndmask_b32_e32 v15, v17, v16, vcc_lo
; %bb.23:                               ;   in Loop: Header=BB52_3 Depth=1
	s_or_b32 exec_lo, exec_lo, s0
	v_and_b32_e32 v6, 0xffff0000, v6
	s_delay_alu instid0(VALU_DEP_1) | instskip(SKIP_1) | instid1(VALU_DEP_1)
	v_cmp_lt_f32_e32 vcc_lo, s3, v6
	v_cndmask_b32_e32 v6, 0, v6, vcc_lo
	v_and_b32_e32 v16, 0x7f800000, v6
	s_delay_alu instid0(VALU_DEP_1) | instskip(SKIP_1) | instid1(SALU_CYCLE_1)
	v_cmp_ne_u32_e32 vcc_lo, 0x7f800000, v16
                                        ; implicit-def: $vgpr16
	s_and_saveexec_b32 s0, vcc_lo
	s_xor_b32 s0, exec_lo, s0
; %bb.24:                               ;   in Loop: Header=BB52_3 Depth=1
	v_bfe_u32 v16, v6, 16, 1
	s_delay_alu instid0(VALU_DEP_1)
	v_add3_u32 v16, v6, v16, 0x7fff
                                        ; implicit-def: $vgpr6
; %bb.25:                               ;   in Loop: Header=BB52_3 Depth=1
	s_and_not1_saveexec_b32 s0, s0
; %bb.26:                               ;   in Loop: Header=BB52_3 Depth=1
	v_and_b32_e32 v16, 0xffff, v6
	v_or_b32_e32 v17, 0x10000, v6
	s_delay_alu instid0(VALU_DEP_2) | instskip(NEXT) | instid1(VALU_DEP_2)
	v_cmp_eq_u32_e32 vcc_lo, 0, v16
	v_cndmask_b32_e32 v16, v17, v6, vcc_lo
; %bb.27:                               ;   in Loop: Header=BB52_3 Depth=1
	s_or_b32 exec_lo, exec_lo, s0
	v_and_b32_e32 v6, 0xffff0000, v15
	v_lshlrev_b32_e32 v15, 16, v2
	s_delay_alu instid0(VALU_DEP_1) | instskip(NEXT) | instid1(VALU_DEP_1)
	v_mul_f32_e32 v15, v6, v15
	v_and_b32_e32 v6, 0x7f800000, v15
	s_delay_alu instid0(VALU_DEP_1) | instskip(SKIP_1) | instid1(SALU_CYCLE_1)
	v_cmp_ne_u32_e32 vcc_lo, 0x7f800000, v6
                                        ; implicit-def: $vgpr6
	s_and_saveexec_b32 s0, vcc_lo
	s_xor_b32 s0, exec_lo, s0
; %bb.28:                               ;   in Loop: Header=BB52_3 Depth=1
	v_bfe_u32 v6, v15, 16, 1
	s_delay_alu instid0(VALU_DEP_1)
	v_add3_u32 v6, v15, v6, 0x7fff
                                        ; implicit-def: $vgpr15
; %bb.29:                               ;   in Loop: Header=BB52_3 Depth=1
	s_and_not1_saveexec_b32 s0, s0
; %bb.30:                               ;   in Loop: Header=BB52_3 Depth=1
	v_and_b32_e32 v6, 0xffff, v15
	v_or_b32_e32 v17, 0x10000, v15
	s_delay_alu instid0(VALU_DEP_2) | instskip(NEXT) | instid1(VALU_DEP_2)
	v_cmp_eq_u32_e32 vcc_lo, 0, v6
	v_cndmask_b32_e32 v6, v17, v15, vcc_lo
; %bb.31:                               ;   in Loop: Header=BB52_3 Depth=1
	s_or_b32 exec_lo, exec_lo, s0
	v_and_b32_e32 v15, 0xffff0000, v16
	v_and_b32_e32 v2, 0xffff0000, v2
	s_delay_alu instid0(VALU_DEP_1) | instskip(NEXT) | instid1(VALU_DEP_1)
	v_mul_f32_e32 v15, v15, v2
	v_and_b32_e32 v2, 0x7f800000, v15
	s_delay_alu instid0(VALU_DEP_1) | instskip(SKIP_1) | instid1(SALU_CYCLE_1)
	v_cmp_ne_u32_e32 vcc_lo, 0x7f800000, v2
                                        ; implicit-def: $vgpr2
	s_and_saveexec_b32 s0, vcc_lo
	s_xor_b32 s0, exec_lo, s0
; %bb.32:                               ;   in Loop: Header=BB52_3 Depth=1
	v_bfe_u32 v2, v15, 16, 1
	s_delay_alu instid0(VALU_DEP_1)
	v_add3_u32 v2, v15, v2, 0x7fff
                                        ; implicit-def: $vgpr15
; %bb.33:                               ;   in Loop: Header=BB52_3 Depth=1
	s_and_not1_saveexec_b32 s0, s0
; %bb.34:                               ;   in Loop: Header=BB52_3 Depth=1
	v_and_b32_e32 v2, 0xffff, v15
	v_or_b32_e32 v16, 0x10000, v15
	s_delay_alu instid0(VALU_DEP_2) | instskip(NEXT) | instid1(VALU_DEP_2)
	v_cmp_eq_u32_e32 vcc_lo, 0, v2
	v_cndmask_b32_e32 v2, v16, v15, vcc_lo
; %bb.35:                               ;   in Loop: Header=BB52_3 Depth=1
	s_or_b32 exec_lo, exec_lo, s0
	v_lshlrev_b32_e32 v15, 16, v7
	s_delay_alu instid0(VALU_DEP_1) | instskip(SKIP_1) | instid1(VALU_DEP_1)
	v_cmp_lt_f32_e32 vcc_lo, s3, v15
	v_cndmask_b32_e32 v16, 0, v15, vcc_lo
	v_and_b32_e32 v15, 0x7f800000, v16
	s_delay_alu instid0(VALU_DEP_1) | instskip(SKIP_1) | instid1(SALU_CYCLE_1)
	v_cmp_ne_u32_e32 vcc_lo, 0x7f800000, v15
                                        ; implicit-def: $vgpr15
	s_and_saveexec_b32 s0, vcc_lo
	s_xor_b32 s0, exec_lo, s0
; %bb.36:                               ;   in Loop: Header=BB52_3 Depth=1
	v_bfe_u32 v15, v16, 16, 1
	s_delay_alu instid0(VALU_DEP_1)
	v_add3_u32 v15, v16, v15, 0x7fff
                                        ; implicit-def: $vgpr16
; %bb.37:                               ;   in Loop: Header=BB52_3 Depth=1
	s_and_not1_saveexec_b32 s0, s0
; %bb.38:                               ;   in Loop: Header=BB52_3 Depth=1
	v_and_b32_e32 v15, 0xffff, v16
	v_or_b32_e32 v17, 0x10000, v16
	s_delay_alu instid0(VALU_DEP_2) | instskip(NEXT) | instid1(VALU_DEP_2)
	v_cmp_eq_u32_e32 vcc_lo, 0, v15
	v_cndmask_b32_e32 v15, v17, v16, vcc_lo
; %bb.39:                               ;   in Loop: Header=BB52_3 Depth=1
	s_or_b32 exec_lo, exec_lo, s0
	v_and_b32_e32 v7, 0xffff0000, v7
	s_delay_alu instid0(VALU_DEP_1) | instskip(SKIP_1) | instid1(VALU_DEP_1)
	v_cmp_lt_f32_e32 vcc_lo, s3, v7
	v_cndmask_b32_e32 v7, 0, v7, vcc_lo
	v_and_b32_e32 v16, 0x7f800000, v7
	s_delay_alu instid0(VALU_DEP_1) | instskip(SKIP_1) | instid1(SALU_CYCLE_1)
	v_cmp_ne_u32_e32 vcc_lo, 0x7f800000, v16
                                        ; implicit-def: $vgpr16
	s_and_saveexec_b32 s0, vcc_lo
	s_xor_b32 s0, exec_lo, s0
; %bb.40:                               ;   in Loop: Header=BB52_3 Depth=1
	v_bfe_u32 v16, v7, 16, 1
	s_delay_alu instid0(VALU_DEP_1)
	v_add3_u32 v16, v7, v16, 0x7fff
                                        ; implicit-def: $vgpr7
; %bb.41:                               ;   in Loop: Header=BB52_3 Depth=1
	s_and_not1_saveexec_b32 s0, s0
; %bb.42:                               ;   in Loop: Header=BB52_3 Depth=1
	v_and_b32_e32 v16, 0xffff, v7
	v_or_b32_e32 v17, 0x10000, v7
	s_delay_alu instid0(VALU_DEP_2) | instskip(NEXT) | instid1(VALU_DEP_2)
	v_cmp_eq_u32_e32 vcc_lo, 0, v16
	v_cndmask_b32_e32 v16, v17, v7, vcc_lo
; %bb.43:                               ;   in Loop: Header=BB52_3 Depth=1
	s_or_b32 exec_lo, exec_lo, s0
	v_and_b32_e32 v7, 0xffff0000, v15
	v_lshlrev_b32_e32 v15, 16, v3
	s_delay_alu instid0(VALU_DEP_1) | instskip(NEXT) | instid1(VALU_DEP_1)
	v_mul_f32_e32 v15, v7, v15
	v_and_b32_e32 v7, 0x7f800000, v15
	s_delay_alu instid0(VALU_DEP_1) | instskip(SKIP_1) | instid1(SALU_CYCLE_1)
	v_cmp_ne_u32_e32 vcc_lo, 0x7f800000, v7
                                        ; implicit-def: $vgpr7
	s_and_saveexec_b32 s0, vcc_lo
	s_xor_b32 s0, exec_lo, s0
; %bb.44:                               ;   in Loop: Header=BB52_3 Depth=1
	v_bfe_u32 v7, v15, 16, 1
	s_delay_alu instid0(VALU_DEP_1)
	v_add3_u32 v7, v15, v7, 0x7fff
                                        ; implicit-def: $vgpr15
; %bb.45:                               ;   in Loop: Header=BB52_3 Depth=1
	s_and_not1_saveexec_b32 s0, s0
; %bb.46:                               ;   in Loop: Header=BB52_3 Depth=1
	v_and_b32_e32 v7, 0xffff, v15
	v_or_b32_e32 v17, 0x10000, v15
	s_delay_alu instid0(VALU_DEP_2) | instskip(NEXT) | instid1(VALU_DEP_2)
	v_cmp_eq_u32_e32 vcc_lo, 0, v7
	v_cndmask_b32_e32 v7, v17, v15, vcc_lo
; %bb.47:                               ;   in Loop: Header=BB52_3 Depth=1
	s_or_b32 exec_lo, exec_lo, s0
	v_and_b32_e32 v15, 0xffff0000, v16
	v_and_b32_e32 v3, 0xffff0000, v3
	s_delay_alu instid0(VALU_DEP_1) | instskip(NEXT) | instid1(VALU_DEP_1)
	v_mul_f32_e32 v15, v15, v3
	v_and_b32_e32 v3, 0x7f800000, v15
	s_delay_alu instid0(VALU_DEP_1) | instskip(SKIP_1) | instid1(SALU_CYCLE_1)
	v_cmp_ne_u32_e32 vcc_lo, 0x7f800000, v3
                                        ; implicit-def: $vgpr3
	s_and_saveexec_b32 s0, vcc_lo
	s_xor_b32 s0, exec_lo, s0
; %bb.48:                               ;   in Loop: Header=BB52_3 Depth=1
	v_bfe_u32 v3, v15, 16, 1
	s_delay_alu instid0(VALU_DEP_1)
	v_add3_u32 v3, v15, v3, 0x7fff
                                        ; implicit-def: $vgpr15
; %bb.49:                               ;   in Loop: Header=BB52_3 Depth=1
	s_and_not1_saveexec_b32 s0, s0
; %bb.50:                               ;   in Loop: Header=BB52_3 Depth=1
	v_and_b32_e32 v3, 0xffff, v15
	v_or_b32_e32 v16, 0x10000, v15
	s_delay_alu instid0(VALU_DEP_2) | instskip(NEXT) | instid1(VALU_DEP_2)
	v_cmp_eq_u32_e32 vcc_lo, 0, v3
	v_cndmask_b32_e32 v3, v16, v15, vcc_lo
; %bb.51:                               ;   in Loop: Header=BB52_3 Depth=1
	s_or_b32 exec_lo, exec_lo, s0
	v_lshlrev_b32_e32 v15, 16, v8
	s_delay_alu instid0(VALU_DEP_1) | instskip(SKIP_1) | instid1(VALU_DEP_1)
	v_cmp_lt_f32_e32 vcc_lo, s3, v15
	v_cndmask_b32_e32 v16, 0, v15, vcc_lo
	v_and_b32_e32 v15, 0x7f800000, v16
	s_delay_alu instid0(VALU_DEP_1) | instskip(SKIP_1) | instid1(SALU_CYCLE_1)
	v_cmp_ne_u32_e32 vcc_lo, 0x7f800000, v15
                                        ; implicit-def: $vgpr15
	s_and_saveexec_b32 s0, vcc_lo
	s_xor_b32 s0, exec_lo, s0
; %bb.52:                               ;   in Loop: Header=BB52_3 Depth=1
	v_bfe_u32 v15, v16, 16, 1
	s_delay_alu instid0(VALU_DEP_1)
	v_add3_u32 v15, v16, v15, 0x7fff
                                        ; implicit-def: $vgpr16
; %bb.53:                               ;   in Loop: Header=BB52_3 Depth=1
	s_and_not1_saveexec_b32 s0, s0
; %bb.54:                               ;   in Loop: Header=BB52_3 Depth=1
	v_and_b32_e32 v15, 0xffff, v16
	v_or_b32_e32 v17, 0x10000, v16
	s_delay_alu instid0(VALU_DEP_2) | instskip(NEXT) | instid1(VALU_DEP_2)
	v_cmp_eq_u32_e32 vcc_lo, 0, v15
	v_cndmask_b32_e32 v15, v17, v16, vcc_lo
; %bb.55:                               ;   in Loop: Header=BB52_3 Depth=1
	s_or_b32 exec_lo, exec_lo, s0
	v_and_b32_e32 v8, 0xffff0000, v8
	s_delay_alu instid0(VALU_DEP_1) | instskip(SKIP_1) | instid1(VALU_DEP_1)
	v_cmp_lt_f32_e32 vcc_lo, s3, v8
	v_cndmask_b32_e32 v8, 0, v8, vcc_lo
	v_and_b32_e32 v16, 0x7f800000, v8
	s_delay_alu instid0(VALU_DEP_1) | instskip(SKIP_1) | instid1(SALU_CYCLE_1)
	v_cmp_ne_u32_e32 vcc_lo, 0x7f800000, v16
                                        ; implicit-def: $vgpr16
	s_and_saveexec_b32 s0, vcc_lo
	s_xor_b32 s0, exec_lo, s0
; %bb.56:                               ;   in Loop: Header=BB52_3 Depth=1
	v_bfe_u32 v16, v8, 16, 1
	s_delay_alu instid0(VALU_DEP_1)
	v_add3_u32 v16, v8, v16, 0x7fff
                                        ; implicit-def: $vgpr8
; %bb.57:                               ;   in Loop: Header=BB52_3 Depth=1
	s_and_not1_saveexec_b32 s0, s0
; %bb.58:                               ;   in Loop: Header=BB52_3 Depth=1
	v_and_b32_e32 v16, 0xffff, v8
	v_or_b32_e32 v17, 0x10000, v8
	s_delay_alu instid0(VALU_DEP_2) | instskip(NEXT) | instid1(VALU_DEP_2)
	v_cmp_eq_u32_e32 vcc_lo, 0, v16
	v_cndmask_b32_e32 v16, v17, v8, vcc_lo
; %bb.59:                               ;   in Loop: Header=BB52_3 Depth=1
	s_or_b32 exec_lo, exec_lo, s0
	v_and_b32_e32 v8, 0xffff0000, v15
	v_lshlrev_b32_e32 v15, 16, v4
	s_delay_alu instid0(VALU_DEP_1) | instskip(NEXT) | instid1(VALU_DEP_1)
	v_mul_f32_e32 v15, v8, v15
	v_and_b32_e32 v8, 0x7f800000, v15
	s_delay_alu instid0(VALU_DEP_1) | instskip(SKIP_1) | instid1(SALU_CYCLE_1)
	v_cmp_ne_u32_e32 vcc_lo, 0x7f800000, v8
                                        ; implicit-def: $vgpr8
	s_and_saveexec_b32 s0, vcc_lo
	s_xor_b32 s0, exec_lo, s0
; %bb.60:                               ;   in Loop: Header=BB52_3 Depth=1
	v_bfe_u32 v8, v15, 16, 1
	s_delay_alu instid0(VALU_DEP_1)
	v_add3_u32 v8, v15, v8, 0x7fff
                                        ; implicit-def: $vgpr15
; %bb.61:                               ;   in Loop: Header=BB52_3 Depth=1
	s_and_not1_saveexec_b32 s0, s0
; %bb.62:                               ;   in Loop: Header=BB52_3 Depth=1
	v_and_b32_e32 v8, 0xffff, v15
	v_or_b32_e32 v17, 0x10000, v15
	s_delay_alu instid0(VALU_DEP_2) | instskip(NEXT) | instid1(VALU_DEP_2)
	v_cmp_eq_u32_e32 vcc_lo, 0, v8
	v_cndmask_b32_e32 v8, v17, v15, vcc_lo
; %bb.63:                               ;   in Loop: Header=BB52_3 Depth=1
	s_or_b32 exec_lo, exec_lo, s0
	v_and_b32_e32 v15, 0xffff0000, v16
	v_and_b32_e32 v4, 0xffff0000, v4
	s_delay_alu instid0(VALU_DEP_1) | instskip(NEXT) | instid1(VALU_DEP_1)
	v_mul_f32_e32 v15, v15, v4
	v_and_b32_e32 v4, 0x7f800000, v15
	s_delay_alu instid0(VALU_DEP_1) | instskip(SKIP_1) | instid1(SALU_CYCLE_1)
	v_cmp_ne_u32_e32 vcc_lo, 0x7f800000, v4
                                        ; implicit-def: $vgpr4
	s_and_saveexec_b32 s0, vcc_lo
	s_xor_b32 s0, exec_lo, s0
; %bb.64:                               ;   in Loop: Header=BB52_3 Depth=1
	v_bfe_u32 v4, v15, 16, 1
	s_delay_alu instid0(VALU_DEP_1)
	v_add3_u32 v4, v15, v4, 0x7fff
                                        ; implicit-def: $vgpr15
; %bb.65:                               ;   in Loop: Header=BB52_3 Depth=1
	s_and_not1_saveexec_b32 s0, s0
	s_cbranch_execz .LBB52_2
; %bb.66:                               ;   in Loop: Header=BB52_3 Depth=1
	v_and_b32_e32 v4, 0xffff, v15
	v_or_b32_e32 v16, 0x10000, v15
	s_delay_alu instid0(VALU_DEP_2) | instskip(NEXT) | instid1(VALU_DEP_2)
	v_cmp_eq_u32_e32 vcc_lo, 0, v4
	v_cndmask_b32_e32 v4, v16, v15, vcc_lo
	s_branch .LBB52_2
.LBB52_67:
	s_nop 0
	s_sendmsg sendmsg(MSG_DEALLOC_VGPRS)
	s_endpgm
	.section	.rodata,"a",@progbits
	.p2align	6, 0x0
	.amdhsa_kernel _ZN4vllm29act_and_mul_kernel_with_paramIN3c108BFloat16E15__hip_bfloat162TnPFT_RKS4_fEXadL_ZNS_14fatrelu_kernelIS2_EES4_S6_fEETnPFT0_RKSA_fEXadL_ZNS_21packed_fatrelu_kernelIS3_EES4_S6_fEELb1ELb0EEEvPS4_PS5_if
		.amdhsa_group_segment_fixed_size 0
		.amdhsa_private_segment_fixed_size 0
		.amdhsa_kernarg_size 280
		.amdhsa_user_sgpr_count 15
		.amdhsa_user_sgpr_dispatch_ptr 0
		.amdhsa_user_sgpr_queue_ptr 0
		.amdhsa_user_sgpr_kernarg_segment_ptr 1
		.amdhsa_user_sgpr_dispatch_id 0
		.amdhsa_user_sgpr_private_segment_size 0
		.amdhsa_wavefront_size32 1
		.amdhsa_uses_dynamic_stack 0
		.amdhsa_enable_private_segment 0
		.amdhsa_system_sgpr_workgroup_id_x 1
		.amdhsa_system_sgpr_workgroup_id_y 0
		.amdhsa_system_sgpr_workgroup_id_z 0
		.amdhsa_system_sgpr_workgroup_info 0
		.amdhsa_system_vgpr_workitem_id 0
		.amdhsa_next_free_vgpr 18
		.amdhsa_next_free_sgpr 16
		.amdhsa_reserve_vcc 1
		.amdhsa_float_round_mode_32 0
		.amdhsa_float_round_mode_16_64 0
		.amdhsa_float_denorm_mode_32 3
		.amdhsa_float_denorm_mode_16_64 3
		.amdhsa_dx10_clamp 1
		.amdhsa_ieee_mode 1
		.amdhsa_fp16_overflow 0
		.amdhsa_workgroup_processor_mode 1
		.amdhsa_memory_ordered 1
		.amdhsa_forward_progress 0
		.amdhsa_shared_vgpr_count 0
		.amdhsa_exception_fp_ieee_invalid_op 0
		.amdhsa_exception_fp_denorm_src 0
		.amdhsa_exception_fp_ieee_div_zero 0
		.amdhsa_exception_fp_ieee_overflow 0
		.amdhsa_exception_fp_ieee_underflow 0
		.amdhsa_exception_fp_ieee_inexact 0
		.amdhsa_exception_int_div_zero 0
	.end_amdhsa_kernel
	.section	.text._ZN4vllm29act_and_mul_kernel_with_paramIN3c108BFloat16E15__hip_bfloat162TnPFT_RKS4_fEXadL_ZNS_14fatrelu_kernelIS2_EES4_S6_fEETnPFT0_RKSA_fEXadL_ZNS_21packed_fatrelu_kernelIS3_EES4_S6_fEELb1ELb0EEEvPS4_PS5_if,"axG",@progbits,_ZN4vllm29act_and_mul_kernel_with_paramIN3c108BFloat16E15__hip_bfloat162TnPFT_RKS4_fEXadL_ZNS_14fatrelu_kernelIS2_EES4_S6_fEETnPFT0_RKSA_fEXadL_ZNS_21packed_fatrelu_kernelIS3_EES4_S6_fEELb1ELb0EEEvPS4_PS5_if,comdat
.Lfunc_end52:
	.size	_ZN4vllm29act_and_mul_kernel_with_paramIN3c108BFloat16E15__hip_bfloat162TnPFT_RKS4_fEXadL_ZNS_14fatrelu_kernelIS2_EES4_S6_fEETnPFT0_RKSA_fEXadL_ZNS_21packed_fatrelu_kernelIS3_EES4_S6_fEELb1ELb0EEEvPS4_PS5_if, .Lfunc_end52-_ZN4vllm29act_and_mul_kernel_with_paramIN3c108BFloat16E15__hip_bfloat162TnPFT_RKS4_fEXadL_ZNS_14fatrelu_kernelIS2_EES4_S6_fEETnPFT0_RKSA_fEXadL_ZNS_21packed_fatrelu_kernelIS3_EES4_S6_fEELb1ELb0EEEvPS4_PS5_if
                                        ; -- End function
	.section	.AMDGPU.csdata,"",@progbits
; Kernel info:
; codeLenInByte = 2092
; NumSgprs: 18
; NumVgprs: 18
; ScratchSize: 0
; MemoryBound: 0
; FloatMode: 240
; IeeeMode: 1
; LDSByteSize: 0 bytes/workgroup (compile time only)
; SGPRBlocks: 2
; VGPRBlocks: 2
; NumSGPRsForWavesPerEU: 18
; NumVGPRsForWavesPerEU: 18
; Occupancy: 16
; WaveLimiterHint : 0
; COMPUTE_PGM_RSRC2:SCRATCH_EN: 0
; COMPUTE_PGM_RSRC2:USER_SGPR: 15
; COMPUTE_PGM_RSRC2:TRAP_HANDLER: 0
; COMPUTE_PGM_RSRC2:TGID_X_EN: 1
; COMPUTE_PGM_RSRC2:TGID_Y_EN: 0
; COMPUTE_PGM_RSRC2:TGID_Z_EN: 0
; COMPUTE_PGM_RSRC2:TIDIG_COMP_CNT: 0
	.section	.text._ZN4vllm29act_and_mul_kernel_with_paramIf15HIP_vector_typeIfLj2EETnPFT_RKS3_fEXadL_ZNS_14fatrelu_kernelIfEES3_S5_fEETnPFT0_RKS9_fEXadL_ZNS_21packed_fatrelu_kernelIS2_EES3_S5_fEELb0ELb0EEEvPS3_PS4_if,"axG",@progbits,_ZN4vllm29act_and_mul_kernel_with_paramIf15HIP_vector_typeIfLj2EETnPFT_RKS3_fEXadL_ZNS_14fatrelu_kernelIfEES3_S5_fEETnPFT0_RKS9_fEXadL_ZNS_21packed_fatrelu_kernelIS2_EES3_S5_fEELb0ELb0EEEvPS3_PS4_if,comdat
	.protected	_ZN4vllm29act_and_mul_kernel_with_paramIf15HIP_vector_typeIfLj2EETnPFT_RKS3_fEXadL_ZNS_14fatrelu_kernelIfEES3_S5_fEETnPFT0_RKS9_fEXadL_ZNS_21packed_fatrelu_kernelIS2_EES3_S5_fEELb0ELb0EEEvPS3_PS4_if ; -- Begin function _ZN4vllm29act_and_mul_kernel_with_paramIf15HIP_vector_typeIfLj2EETnPFT_RKS3_fEXadL_ZNS_14fatrelu_kernelIfEES3_S5_fEETnPFT0_RKS9_fEXadL_ZNS_21packed_fatrelu_kernelIS2_EES3_S5_fEELb0ELb0EEEvPS3_PS4_if
	.globl	_ZN4vllm29act_and_mul_kernel_with_paramIf15HIP_vector_typeIfLj2EETnPFT_RKS3_fEXadL_ZNS_14fatrelu_kernelIfEES3_S5_fEETnPFT0_RKS9_fEXadL_ZNS_21packed_fatrelu_kernelIS2_EES3_S5_fEELb0ELb0EEEvPS3_PS4_if
	.p2align	8
	.type	_ZN4vllm29act_and_mul_kernel_with_paramIf15HIP_vector_typeIfLj2EETnPFT_RKS3_fEXadL_ZNS_14fatrelu_kernelIfEES3_S5_fEETnPFT0_RKS9_fEXadL_ZNS_21packed_fatrelu_kernelIS2_EES3_S5_fEELb0ELb0EEEvPS3_PS4_if,@function
_ZN4vllm29act_and_mul_kernel_with_paramIf15HIP_vector_typeIfLj2EETnPFT_RKS3_fEXadL_ZNS_14fatrelu_kernelIfEES3_S5_fEETnPFT0_RKS9_fEXadL_ZNS_21packed_fatrelu_kernelIS2_EES3_S5_fEELb0ELb0EEEvPS3_PS4_if: ; @_ZN4vllm29act_and_mul_kernel_with_paramIf15HIP_vector_typeIfLj2EETnPFT_RKS3_fEXadL_ZNS_14fatrelu_kernelIfEES3_S5_fEETnPFT0_RKS9_fEXadL_ZNS_21packed_fatrelu_kernelIS2_EES3_S5_fEELb0ELb0EEEvPS3_PS4_if
; %bb.0:
	s_load_b64 s[2:3], s[0:1], 0x10
	s_mov_b32 s4, exec_lo
	s_waitcnt lgkmcnt(0)
	v_cmpx_gt_i32_e64 s2, v0
	s_cbranch_execz .LBB53_3
; %bb.1:
	s_clause 0x1
	s_load_b128 s[16:19], s[0:1], 0x0
	s_load_b32 s12, s[0:1], 0x24
	s_mul_i32 s10, s15, s2
	s_mov_b32 s1, 0
	s_lshl_b32 s0, s10, 1
	s_mov_b32 s4, s2
	s_lshl_b64 s[6:7], s[0:1], 2
	v_dual_mov_b32 v1, 0 :: v_dual_lshlrev_b32 v2, 2, v0
	s_mov_b32 s11, s1
	s_delay_alu instid0(VALU_DEP_1) | instskip(SKIP_4) | instid1(SALU_CYCLE_1)
	v_mov_b32_e32 v3, v1
	s_waitcnt lgkmcnt(0)
	s_add_u32 s6, s18, s6
	s_addc_u32 s7, s19, s7
	s_ashr_i32 s5, s2, 31
	s_lshl_b64 s[8:9], s[4:5], 2
	s_delay_alu instid0(SALU_CYCLE_1) | instskip(SKIP_2) | instid1(SALU_CYCLE_1)
	s_add_u32 s2, s6, s8
	s_addc_u32 s8, s7, s9
	s_lshl_b64 s[10:11], s[10:11], 2
	s_add_u32 s9, s16, s10
	s_addc_u32 s10, s17, s11
	s_and_b32 s11, s12, 0xffff
	s_delay_alu instid0(SALU_CYCLE_1)
	s_lshl_b32 s12, s11, 2
	.p2align	6
.LBB53_2:                               ; =>This Inner Loop Header: Depth=1
	v_add_co_u32 v4, vcc_lo, s6, v2
	v_add_co_ci_u32_e32 v5, vcc_lo, s7, v3, vcc_lo
	v_add_co_u32 v6, vcc_lo, s2, v2
	v_add_co_ci_u32_e32 v7, vcc_lo, s8, v3, vcc_lo
	v_add_co_u32 v0, vcc_lo, v0, s11
	s_clause 0x1
	global_load_b32 v8, v[4:5], off
	global_load_b32 v6, v[6:7], off
	v_add_co_ci_u32_e32 v1, vcc_lo, 0, v1, vcc_lo
	v_add_co_u32 v4, vcc_lo, s9, v2
	v_add_co_ci_u32_e32 v5, vcc_lo, s10, v3, vcc_lo
	v_add_co_u32 v2, s0, v2, s12
	s_delay_alu instid0(VALU_DEP_1)
	v_add_co_ci_u32_e64 v3, s0, 0, v3, s0
	s_waitcnt vmcnt(1)
	v_cmp_lt_f32_e32 vcc_lo, s3, v8
	v_cndmask_b32_e32 v7, 0, v8, vcc_lo
	v_cmp_le_i64_e32 vcc_lo, s[4:5], v[0:1]
	s_waitcnt vmcnt(0)
	s_delay_alu instid0(VALU_DEP_2)
	v_mul_f32_e32 v6, v6, v7
	s_or_b32 s1, vcc_lo, s1
	global_store_b32 v[4:5], v6, off
	s_and_not1_b32 exec_lo, exec_lo, s1
	s_cbranch_execnz .LBB53_2
.LBB53_3:
	s_nop 0
	s_sendmsg sendmsg(MSG_DEALLOC_VGPRS)
	s_endpgm
	.section	.rodata,"a",@progbits
	.p2align	6, 0x0
	.amdhsa_kernel _ZN4vllm29act_and_mul_kernel_with_paramIf15HIP_vector_typeIfLj2EETnPFT_RKS3_fEXadL_ZNS_14fatrelu_kernelIfEES3_S5_fEETnPFT0_RKS9_fEXadL_ZNS_21packed_fatrelu_kernelIS2_EES3_S5_fEELb0ELb0EEEvPS3_PS4_if
		.amdhsa_group_segment_fixed_size 0
		.amdhsa_private_segment_fixed_size 0
		.amdhsa_kernarg_size 280
		.amdhsa_user_sgpr_count 15
		.amdhsa_user_sgpr_dispatch_ptr 0
		.amdhsa_user_sgpr_queue_ptr 0
		.amdhsa_user_sgpr_kernarg_segment_ptr 1
		.amdhsa_user_sgpr_dispatch_id 0
		.amdhsa_user_sgpr_private_segment_size 0
		.amdhsa_wavefront_size32 1
		.amdhsa_uses_dynamic_stack 0
		.amdhsa_enable_private_segment 0
		.amdhsa_system_sgpr_workgroup_id_x 1
		.amdhsa_system_sgpr_workgroup_id_y 0
		.amdhsa_system_sgpr_workgroup_id_z 0
		.amdhsa_system_sgpr_workgroup_info 0
		.amdhsa_system_vgpr_workitem_id 0
		.amdhsa_next_free_vgpr 9
		.amdhsa_next_free_sgpr 20
		.amdhsa_reserve_vcc 1
		.amdhsa_float_round_mode_32 0
		.amdhsa_float_round_mode_16_64 0
		.amdhsa_float_denorm_mode_32 3
		.amdhsa_float_denorm_mode_16_64 3
		.amdhsa_dx10_clamp 1
		.amdhsa_ieee_mode 1
		.amdhsa_fp16_overflow 0
		.amdhsa_workgroup_processor_mode 1
		.amdhsa_memory_ordered 1
		.amdhsa_forward_progress 0
		.amdhsa_shared_vgpr_count 0
		.amdhsa_exception_fp_ieee_invalid_op 0
		.amdhsa_exception_fp_denorm_src 0
		.amdhsa_exception_fp_ieee_div_zero 0
		.amdhsa_exception_fp_ieee_overflow 0
		.amdhsa_exception_fp_ieee_underflow 0
		.amdhsa_exception_fp_ieee_inexact 0
		.amdhsa_exception_int_div_zero 0
	.end_amdhsa_kernel
	.section	.text._ZN4vllm29act_and_mul_kernel_with_paramIf15HIP_vector_typeIfLj2EETnPFT_RKS3_fEXadL_ZNS_14fatrelu_kernelIfEES3_S5_fEETnPFT0_RKS9_fEXadL_ZNS_21packed_fatrelu_kernelIS2_EES3_S5_fEELb0ELb0EEEvPS3_PS4_if,"axG",@progbits,_ZN4vllm29act_and_mul_kernel_with_paramIf15HIP_vector_typeIfLj2EETnPFT_RKS3_fEXadL_ZNS_14fatrelu_kernelIfEES3_S5_fEETnPFT0_RKS9_fEXadL_ZNS_21packed_fatrelu_kernelIS2_EES3_S5_fEELb0ELb0EEEvPS3_PS4_if,comdat
.Lfunc_end53:
	.size	_ZN4vllm29act_and_mul_kernel_with_paramIf15HIP_vector_typeIfLj2EETnPFT_RKS3_fEXadL_ZNS_14fatrelu_kernelIfEES3_S5_fEETnPFT0_RKS9_fEXadL_ZNS_21packed_fatrelu_kernelIS2_EES3_S5_fEELb0ELb0EEEvPS3_PS4_if, .Lfunc_end53-_ZN4vllm29act_and_mul_kernel_with_paramIf15HIP_vector_typeIfLj2EETnPFT_RKS3_fEXadL_ZNS_14fatrelu_kernelIfEES3_S5_fEETnPFT0_RKS9_fEXadL_ZNS_21packed_fatrelu_kernelIS2_EES3_S5_fEELb0ELb0EEEvPS3_PS4_if
                                        ; -- End function
	.section	.AMDGPU.csdata,"",@progbits
; Kernel info:
; codeLenInByte = 296
; NumSgprs: 22
; NumVgprs: 9
; ScratchSize: 0
; MemoryBound: 0
; FloatMode: 240
; IeeeMode: 1
; LDSByteSize: 0 bytes/workgroup (compile time only)
; SGPRBlocks: 2
; VGPRBlocks: 1
; NumSGPRsForWavesPerEU: 22
; NumVGPRsForWavesPerEU: 9
; Occupancy: 16
; WaveLimiterHint : 0
; COMPUTE_PGM_RSRC2:SCRATCH_EN: 0
; COMPUTE_PGM_RSRC2:USER_SGPR: 15
; COMPUTE_PGM_RSRC2:TRAP_HANDLER: 0
; COMPUTE_PGM_RSRC2:TGID_X_EN: 1
; COMPUTE_PGM_RSRC2:TGID_Y_EN: 0
; COMPUTE_PGM_RSRC2:TGID_Z_EN: 0
; COMPUTE_PGM_RSRC2:TIDIG_COMP_CNT: 0
	.section	.text._ZN4vllm29act_and_mul_kernel_with_paramIN3c104HalfE7__half2TnPFT_RKS4_fEXadL_ZNS_14fatrelu_kernelIS2_EES4_S6_fEETnPFT0_RKSA_fEXadL_ZNS_21packed_fatrelu_kernelIS3_EES4_S6_fEELb0ELb0EEEvPS4_PS5_if,"axG",@progbits,_ZN4vllm29act_and_mul_kernel_with_paramIN3c104HalfE7__half2TnPFT_RKS4_fEXadL_ZNS_14fatrelu_kernelIS2_EES4_S6_fEETnPFT0_RKSA_fEXadL_ZNS_21packed_fatrelu_kernelIS3_EES4_S6_fEELb0ELb0EEEvPS4_PS5_if,comdat
	.protected	_ZN4vllm29act_and_mul_kernel_with_paramIN3c104HalfE7__half2TnPFT_RKS4_fEXadL_ZNS_14fatrelu_kernelIS2_EES4_S6_fEETnPFT0_RKSA_fEXadL_ZNS_21packed_fatrelu_kernelIS3_EES4_S6_fEELb0ELb0EEEvPS4_PS5_if ; -- Begin function _ZN4vllm29act_and_mul_kernel_with_paramIN3c104HalfE7__half2TnPFT_RKS4_fEXadL_ZNS_14fatrelu_kernelIS2_EES4_S6_fEETnPFT0_RKSA_fEXadL_ZNS_21packed_fatrelu_kernelIS3_EES4_S6_fEELb0ELb0EEEvPS4_PS5_if
	.globl	_ZN4vllm29act_and_mul_kernel_with_paramIN3c104HalfE7__half2TnPFT_RKS4_fEXadL_ZNS_14fatrelu_kernelIS2_EES4_S6_fEETnPFT0_RKSA_fEXadL_ZNS_21packed_fatrelu_kernelIS3_EES4_S6_fEELb0ELb0EEEvPS4_PS5_if
	.p2align	8
	.type	_ZN4vllm29act_and_mul_kernel_with_paramIN3c104HalfE7__half2TnPFT_RKS4_fEXadL_ZNS_14fatrelu_kernelIS2_EES4_S6_fEETnPFT0_RKSA_fEXadL_ZNS_21packed_fatrelu_kernelIS3_EES4_S6_fEELb0ELb0EEEvPS4_PS5_if,@function
_ZN4vllm29act_and_mul_kernel_with_paramIN3c104HalfE7__half2TnPFT_RKS4_fEXadL_ZNS_14fatrelu_kernelIS2_EES4_S6_fEETnPFT0_RKSA_fEXadL_ZNS_21packed_fatrelu_kernelIS3_EES4_S6_fEELb0ELb0EEEvPS4_PS5_if: ; @_ZN4vllm29act_and_mul_kernel_with_paramIN3c104HalfE7__half2TnPFT_RKS4_fEXadL_ZNS_14fatrelu_kernelIS2_EES4_S6_fEETnPFT0_RKSA_fEXadL_ZNS_21packed_fatrelu_kernelIS3_EES4_S6_fEELb0ELb0EEEvPS4_PS5_if
; %bb.0:
	s_load_b64 s[8:9], s[0:1], 0x10
	s_mov_b32 s2, exec_lo
	s_waitcnt lgkmcnt(0)
	v_cmpx_gt_i32_e64 s8, v0
	s_cbranch_execz .LBB54_12
; %bb.1:
	s_load_b32 s2, s[0:1], 0x24
	s_ashr_i32 s11, s8, 31
	s_mov_b32 s10, s8
	s_waitcnt lgkmcnt(0)
	s_and_b32 s16, s2, 0xffff
	s_delay_alu instid0(SALU_CYCLE_1) | instskip(NEXT) | instid1(VALU_DEP_1)
	v_add_co_u32 v1, s2, v0, s16
	v_add_co_ci_u32_e64 v2, null, 0, 0, s2
	s_delay_alu instid0(VALU_DEP_1) | instskip(SKIP_1) | instid1(VALU_DEP_2)
	v_cmp_gt_i64_e64 s2, s[10:11], v[1:2]
	v_cmp_lt_i64_e32 vcc_lo, s[10:11], v[1:2]
	v_cndmask_b32_e64 v6, 0, 1, s2
	v_cndmask_b32_e32 v3, s11, v2, vcc_lo
	v_cndmask_b32_e32 v4, s10, v1, vcc_lo
	s_mov_b32 s2, exec_lo
	s_delay_alu instid0(VALU_DEP_3) | instskip(SKIP_2) | instid1(VALU_DEP_3)
	v_add_co_u32 v5, vcc_lo, v1, v6
	v_mov_b32_e32 v1, 0
	v_add_co_ci_u32_e32 v2, vcc_lo, 0, v2, vcc_lo
	v_sub_co_u32 v7, vcc_lo, v4, v5
                                        ; implicit-def: $vgpr4_vgpr5
	s_delay_alu instid0(VALU_DEP_2) | instskip(NEXT) | instid1(VALU_DEP_4)
	v_sub_co_ci_u32_e32 v3, vcc_lo, v3, v2, vcc_lo
	v_mov_b32_e32 v2, v1
	s_delay_alu instid0(VALU_DEP_1)
	v_cmpx_ne_u64_e32 0, v[2:3]
	s_xor_b32 s3, exec_lo, s2
	s_cbranch_execz .LBB54_3
; %bb.2:
	v_cvt_f32_u32_e32 v2, s16
	s_sub_u32 s2, 0, s16
	s_subb_u32 s4, 0, 0
	s_delay_alu instid0(VALU_DEP_1) | instskip(NEXT) | instid1(VALU_DEP_1)
	v_fmamk_f32 v2, 0, 0x4f800000, v2
	v_rcp_f32_e32 v2, v2
	s_waitcnt_depctr 0xfff
	v_mul_f32_e32 v2, 0x5f7ffffc, v2
	s_delay_alu instid0(VALU_DEP_1) | instskip(NEXT) | instid1(VALU_DEP_1)
	v_mul_f32_e32 v4, 0x2f800000, v2
	v_trunc_f32_e32 v4, v4
	s_delay_alu instid0(VALU_DEP_1) | instskip(SKIP_1) | instid1(VALU_DEP_2)
	v_fmamk_f32 v2, v4, 0xcf800000, v2
	v_cvt_u32_f32_e32 v4, v4
	v_cvt_u32_f32_e32 v2, v2
	s_delay_alu instid0(VALU_DEP_2) | instskip(NEXT) | instid1(VALU_DEP_2)
	v_mul_lo_u32 v5, s2, v4
	v_mul_hi_u32 v8, s2, v2
	v_mul_lo_u32 v9, s4, v2
	s_delay_alu instid0(VALU_DEP_2) | instskip(SKIP_1) | instid1(VALU_DEP_2)
	v_add_nc_u32_e32 v5, v8, v5
	v_mul_lo_u32 v8, s2, v2
	v_add_nc_u32_e32 v5, v5, v9
	s_delay_alu instid0(VALU_DEP_2) | instskip(NEXT) | instid1(VALU_DEP_2)
	v_mul_hi_u32 v9, v2, v8
	v_mul_lo_u32 v10, v2, v5
	v_mul_hi_u32 v11, v2, v5
	v_mul_hi_u32 v12, v4, v8
	v_mul_lo_u32 v8, v4, v8
	v_mul_hi_u32 v13, v4, v5
	v_mul_lo_u32 v5, v4, v5
	v_add_co_u32 v9, vcc_lo, v9, v10
	v_add_co_ci_u32_e32 v10, vcc_lo, 0, v11, vcc_lo
	s_delay_alu instid0(VALU_DEP_2) | instskip(NEXT) | instid1(VALU_DEP_2)
	v_add_co_u32 v8, vcc_lo, v9, v8
	v_add_co_ci_u32_e32 v8, vcc_lo, v10, v12, vcc_lo
	v_add_co_ci_u32_e32 v9, vcc_lo, 0, v13, vcc_lo
	s_delay_alu instid0(VALU_DEP_2) | instskip(NEXT) | instid1(VALU_DEP_2)
	v_add_co_u32 v5, vcc_lo, v8, v5
	v_add_co_ci_u32_e32 v8, vcc_lo, 0, v9, vcc_lo
	s_delay_alu instid0(VALU_DEP_2) | instskip(NEXT) | instid1(VALU_DEP_2)
	v_add_co_u32 v2, vcc_lo, v2, v5
	v_add_co_ci_u32_e32 v4, vcc_lo, v4, v8, vcc_lo
	s_delay_alu instid0(VALU_DEP_2) | instskip(SKIP_1) | instid1(VALU_DEP_3)
	v_mul_hi_u32 v5, s2, v2
	v_mul_lo_u32 v9, s4, v2
	v_mul_lo_u32 v8, s2, v4
	s_delay_alu instid0(VALU_DEP_1) | instskip(SKIP_1) | instid1(VALU_DEP_2)
	v_add_nc_u32_e32 v5, v5, v8
	v_mul_lo_u32 v8, s2, v2
	v_add_nc_u32_e32 v5, v5, v9
	s_delay_alu instid0(VALU_DEP_2) | instskip(NEXT) | instid1(VALU_DEP_2)
	v_mul_hi_u32 v9, v2, v8
	v_mul_lo_u32 v10, v2, v5
	v_mul_hi_u32 v11, v2, v5
	v_mul_hi_u32 v12, v4, v8
	v_mul_lo_u32 v8, v4, v8
	v_mul_hi_u32 v13, v4, v5
	v_mul_lo_u32 v5, v4, v5
	v_add_co_u32 v9, vcc_lo, v9, v10
	v_add_co_ci_u32_e32 v10, vcc_lo, 0, v11, vcc_lo
	s_delay_alu instid0(VALU_DEP_2) | instskip(NEXT) | instid1(VALU_DEP_2)
	v_add_co_u32 v8, vcc_lo, v9, v8
	v_add_co_ci_u32_e32 v8, vcc_lo, v10, v12, vcc_lo
	v_add_co_ci_u32_e32 v9, vcc_lo, 0, v13, vcc_lo
	s_delay_alu instid0(VALU_DEP_2) | instskip(NEXT) | instid1(VALU_DEP_2)
	v_add_co_u32 v5, vcc_lo, v8, v5
	v_add_co_ci_u32_e32 v8, vcc_lo, 0, v9, vcc_lo
	s_delay_alu instid0(VALU_DEP_2) | instskip(NEXT) | instid1(VALU_DEP_2)
	v_add_co_u32 v2, vcc_lo, v2, v5
	v_add_co_ci_u32_e32 v12, vcc_lo, v4, v8, vcc_lo
	s_delay_alu instid0(VALU_DEP_2) | instskip(SKIP_1) | instid1(VALU_DEP_3)
	v_mul_hi_u32 v13, v7, v2
	v_mad_u64_u32 v[8:9], null, v3, v2, 0
	v_mad_u64_u32 v[4:5], null, v7, v12, 0
	;; [unrolled: 1-line block ×3, first 2 shown]
	s_delay_alu instid0(VALU_DEP_2) | instskip(NEXT) | instid1(VALU_DEP_3)
	v_add_co_u32 v2, vcc_lo, v13, v4
	v_add_co_ci_u32_e32 v4, vcc_lo, 0, v5, vcc_lo
	s_delay_alu instid0(VALU_DEP_2) | instskip(NEXT) | instid1(VALU_DEP_2)
	v_add_co_u32 v2, vcc_lo, v2, v8
	v_add_co_ci_u32_e32 v2, vcc_lo, v4, v9, vcc_lo
	v_add_co_ci_u32_e32 v4, vcc_lo, 0, v11, vcc_lo
	s_delay_alu instid0(VALU_DEP_2) | instskip(NEXT) | instid1(VALU_DEP_2)
	v_add_co_u32 v10, vcc_lo, v2, v10
	v_add_co_ci_u32_e32 v11, vcc_lo, 0, v4, vcc_lo
	s_delay_alu instid0(VALU_DEP_2) | instskip(NEXT) | instid1(VALU_DEP_1)
	v_mad_u64_u32 v[4:5], null, s16, v10, 0
	v_mov_b32_e32 v2, v5
	s_delay_alu instid0(VALU_DEP_1) | instskip(NEXT) | instid1(VALU_DEP_3)
	v_mad_u64_u32 v[8:9], null, s16, v11, v[2:3]
	v_sub_co_u32 v2, vcc_lo, v7, v4
	s_delay_alu instid0(VALU_DEP_2) | instskip(NEXT) | instid1(VALU_DEP_2)
	v_sub_co_ci_u32_e32 v3, vcc_lo, v3, v8, vcc_lo
	v_sub_co_u32 v4, vcc_lo, v2, s16
	s_delay_alu instid0(VALU_DEP_2) | instskip(NEXT) | instid1(VALU_DEP_2)
	v_subrev_co_ci_u32_e32 v5, vcc_lo, 0, v3, vcc_lo
	v_cmp_le_u32_e32 vcc_lo, s16, v4
	v_cmp_eq_u32_e64 s2, 0, v3
	v_cndmask_b32_e64 v4, 0, -1, vcc_lo
	v_add_co_u32 v7, vcc_lo, v10, 2
	v_add_co_ci_u32_e32 v8, vcc_lo, 0, v11, vcc_lo
	v_cmp_le_u32_e32 vcc_lo, s16, v2
	v_cndmask_b32_e64 v2, 0, -1, vcc_lo
	v_cmp_eq_u32_e32 vcc_lo, 0, v5
	s_delay_alu instid0(VALU_DEP_2) | instskip(SKIP_3) | instid1(VALU_DEP_3)
	v_cndmask_b32_e64 v2, -1, v2, s2
	v_cndmask_b32_e32 v4, -1, v4, vcc_lo
	v_add_co_u32 v5, vcc_lo, v10, 1
	v_add_co_ci_u32_e32 v9, vcc_lo, 0, v11, vcc_lo
	v_cmp_ne_u32_e32 vcc_lo, 0, v4
	s_delay_alu instid0(VALU_DEP_2) | instskip(NEXT) | instid1(VALU_DEP_4)
	v_cndmask_b32_e32 v3, v9, v8, vcc_lo
	v_cndmask_b32_e32 v4, v5, v7, vcc_lo
	v_cmp_ne_u32_e32 vcc_lo, 0, v2
                                        ; implicit-def: $vgpr7
	s_delay_alu instid0(VALU_DEP_2)
	v_dual_cndmask_b32 v5, v11, v3 :: v_dual_cndmask_b32 v4, v10, v4
.LBB54_3:
	s_or_saveexec_b32 s2, s3
	s_load_b128 s[4:7], s[0:1], 0x0
	s_xor_b32 exec_lo, exec_lo, s2
	s_cbranch_execz .LBB54_5
; %bb.4:
	v_cvt_f32_u32_e32 v2, s16
	s_sub_i32 s0, 0, s16
	s_delay_alu instid0(VALU_DEP_1) | instskip(SKIP_2) | instid1(VALU_DEP_1)
	v_rcp_iflag_f32_e32 v2, v2
	s_waitcnt_depctr 0xfff
	v_mul_f32_e32 v2, 0x4f7ffffe, v2
	v_cvt_u32_f32_e32 v2, v2
	s_delay_alu instid0(VALU_DEP_1) | instskip(NEXT) | instid1(VALU_DEP_1)
	v_mul_lo_u32 v3, s0, v2
	v_mul_hi_u32 v3, v2, v3
	s_delay_alu instid0(VALU_DEP_1) | instskip(NEXT) | instid1(VALU_DEP_1)
	v_add_nc_u32_e32 v2, v2, v3
	v_mul_hi_u32 v2, v7, v2
	s_delay_alu instid0(VALU_DEP_1) | instskip(SKIP_1) | instid1(VALU_DEP_2)
	v_mul_lo_u32 v3, v2, s16
	v_add_nc_u32_e32 v4, 1, v2
	v_sub_nc_u32_e32 v3, v7, v3
	s_delay_alu instid0(VALU_DEP_1) | instskip(SKIP_1) | instid1(VALU_DEP_2)
	v_subrev_nc_u32_e32 v5, s16, v3
	v_cmp_le_u32_e32 vcc_lo, s16, v3
	v_cndmask_b32_e32 v3, v3, v5, vcc_lo
	v_dual_mov_b32 v5, 0 :: v_dual_cndmask_b32 v2, v2, v4
	s_delay_alu instid0(VALU_DEP_2) | instskip(NEXT) | instid1(VALU_DEP_2)
	v_cmp_le_u32_e32 vcc_lo, s16, v3
	v_add_nc_u32_e32 v4, 1, v2
	s_delay_alu instid0(VALU_DEP_1)
	v_cndmask_b32_e32 v4, v2, v4, vcc_lo
.LBB54_5:
	s_or_b32 exec_lo, exec_lo, s2
	s_delay_alu instid0(VALU_DEP_1) | instskip(SKIP_2) | instid1(VALU_DEP_3)
	v_add_co_u32 v2, vcc_lo, v4, v6
	v_add_co_ci_u32_e32 v3, vcc_lo, 0, v5, vcc_lo
	v_cmp_eq_u16_e64 s0, s16, 1
	v_add_co_u32 v2, vcc_lo, v2, 1
	s_delay_alu instid0(VALU_DEP_3) | instskip(SKIP_3) | instid1(VALU_DEP_1)
	v_add_co_ci_u32_e32 v3, vcc_lo, 0, v3, vcc_lo
	s_mul_i32 s2, s15, s8
	s_mov_b32 s13, 0
	s_lshl_b32 s12, s2, 1
	v_cmp_lt_u64_e32 vcc_lo, 1, v[2:3]
	s_mov_b32 s3, s13
	s_and_b32 s8, vcc_lo, s0
	s_mov_b32 s0, -1
	s_and_saveexec_b32 s1, s8
	s_cbranch_execz .LBB54_9
; %bb.6:
	v_lshlrev_b32_e32 v6, 1, v0
	s_lshl_b64 s[14:15], s[12:13], 1
	v_dual_mov_b32 v5, v3 :: v_dual_and_b32 v4, -2, v2
	s_waitcnt lgkmcnt(0)
	s_add_u32 s0, s6, s14
	s_addc_u32 s8, s7, s15
	v_add_co_u32 v8, s0, s0, v6
	s_lshl_b64 s[18:19], s[2:3], 1
	v_add_co_ci_u32_e64 v9, null, s8, 0, s0
	s_lshl_b32 s8, s16, 2
	s_lshl_b64 s[14:15], s[10:11], 1
	s_add_u32 s0, s4, s18
	v_add_co_u32 v10, vcc_lo, v8, s14
	s_addc_u32 s14, s5, s19
	v_add_co_u32 v12, s0, s0, v6
	v_add_co_ci_u32_e32 v11, vcc_lo, s15, v9, vcc_lo
	v_add_co_ci_u32_e64 v13, null, s14, 0, s0
	v_dual_mov_b32 v7, v5 :: v_dual_mov_b32 v6, v4
	s_mov_b32 s17, s9
	s_mov_b64 s[14:15], 0
	s_mov_b32 s18, s13
	s_set_inst_prefetch_distance 0x1
	.p2align	6
.LBB54_7:                               ; =>This Inner Loop Header: Depth=1
	v_add_co_u32 v14, vcc_lo, v8, s14
	v_add_co_ci_u32_e32 v15, vcc_lo, s15, v9, vcc_lo
	global_load_b32 v16, v[14:15], off
	v_add_co_u32 v14, vcc_lo, v10, s14
	v_add_co_ci_u32_e32 v15, vcc_lo, s15, v11, vcc_lo
	v_add_co_u32 v6, vcc_lo, v6, -2
	v_add_co_ci_u32_e32 v7, vcc_lo, -1, v7, vcc_lo
	global_load_b32 v17, v[14:15], off
	s_waitcnt vmcnt(1)
	v_lshrrev_b32_e32 v14, 16, v16
	v_cvt_f32_f16_e32 v15, v16
	s_delay_alu instid0(VALU_DEP_2) | instskip(NEXT) | instid1(VALU_DEP_2)
	v_cvt_f32_f16_e32 v18, v14
	v_cmp_lt_f32_e64 s0, s17, v15
	s_delay_alu instid0(VALU_DEP_1) | instskip(NEXT) | instid1(VALU_DEP_3)
	v_cndmask_b32_e64 v15, 0, v16, s0
	v_cmp_lt_f32_e64 s0, s9, v18
	s_delay_alu instid0(VALU_DEP_1) | instskip(SKIP_1) | instid1(VALU_DEP_2)
	v_cndmask_b32_e64 v14, 0, v14, s0
	v_cmp_eq_u64_e64 s0, 0, v[6:7]
	v_perm_b32 v16, v14, v15, 0x5040100
	v_add_co_u32 v14, vcc_lo, v12, s14
	v_add_co_ci_u32_e32 v15, vcc_lo, s15, v13, vcc_lo
	s_waitcnt vmcnt(0)
	s_delay_alu instid0(VALU_DEP_3)
	v_pk_mul_f16 v16, v17, v16
	s_add_u32 s14, s14, s8
	s_addc_u32 s15, s15, 0
	s_or_b32 s18, s0, s18
	global_store_b32 v[14:15], v16, off
	s_and_not1_b32 exec_lo, exec_lo, s18
	s_cbranch_execnz .LBB54_7
; %bb.8:
	s_set_inst_prefetch_distance 0x2
	s_or_b32 exec_lo, exec_lo, s18
	v_mad_u64_u32 v[6:7], null, v4, s16, v[0:1]
	v_cmp_ne_u64_e32 vcc_lo, v[2:3], v[4:5]
	s_or_not1_b32 s0, vcc_lo, exec_lo
	s_delay_alu instid0(VALU_DEP_2) | instskip(NEXT) | instid1(VALU_DEP_1)
	v_mov_b32_e32 v0, v7
	v_mad_u64_u32 v[7:8], null, v5, s16, v[0:1]
	s_delay_alu instid0(VALU_DEP_1)
	v_dual_mov_b32 v0, v6 :: v_dual_mov_b32 v1, v7
.LBB54_9:
	s_or_b32 exec_lo, exec_lo, s1
	s_delay_alu instid0(SALU_CYCLE_1)
	s_and_b32 exec_lo, exec_lo, s0
	s_cbranch_execz .LBB54_12
; %bb.10:
	s_lshl_b64 s[12:13], s[12:13], 1
	v_lshlrev_b64 v[2:3], 1, v[0:1]
	s_waitcnt lgkmcnt(0)
	s_add_u32 s1, s6, s12
	s_addc_u32 s6, s7, s13
	s_lshl_b64 s[12:13], s[10:11], 1
	s_delay_alu instid0(SALU_CYCLE_1) | instskip(SKIP_2) | instid1(SALU_CYCLE_1)
	s_add_u32 s7, s1, s12
	s_addc_u32 s8, s6, s13
	s_lshl_b64 s[2:3], s[2:3], 1
	s_add_u32 s2, s4, s2
	s_addc_u32 s3, s5, s3
	s_lshl_b32 s4, s16, 1
	s_mov_b32 s5, 0
	.p2align	6
.LBB54_11:                              ; =>This Inner Loop Header: Depth=1
	v_add_co_u32 v4, vcc_lo, s1, v2
	v_add_co_ci_u32_e32 v5, vcc_lo, s6, v3, vcc_lo
	global_load_u16 v6, v[4:5], off
	v_add_co_u32 v4, vcc_lo, s7, v2
	v_add_co_ci_u32_e32 v5, vcc_lo, s8, v3, vcc_lo
	v_add_co_u32 v0, vcc_lo, v0, s16
	v_add_co_ci_u32_e32 v1, vcc_lo, 0, v1, vcc_lo
	global_load_u16 v7, v[4:5], off
	v_add_co_u32 v4, vcc_lo, s2, v2
	v_add_co_ci_u32_e32 v5, vcc_lo, s3, v3, vcc_lo
	v_add_co_u32 v2, s0, v2, s4
	s_delay_alu instid0(VALU_DEP_1) | instskip(SKIP_2) | instid1(VALU_DEP_1)
	v_add_co_ci_u32_e64 v3, s0, 0, v3, s0
	s_waitcnt vmcnt(1)
	v_cvt_f32_f16_e32 v8, v6
	v_cmp_lt_f32_e32 vcc_lo, s9, v8
	v_cndmask_b32_e32 v6, 0, v6, vcc_lo
	v_cmp_le_i64_e32 vcc_lo, s[10:11], v[0:1]
	s_waitcnt vmcnt(0)
	s_delay_alu instid0(VALU_DEP_2)
	v_mul_f16_e32 v6, v7, v6
	s_or_b32 s5, vcc_lo, s5
	global_store_b16 v[4:5], v6, off
	s_and_not1_b32 exec_lo, exec_lo, s5
	s_cbranch_execnz .LBB54_11
.LBB54_12:
	s_nop 0
	s_sendmsg sendmsg(MSG_DEALLOC_VGPRS)
	s_endpgm
	.section	.rodata,"a",@progbits
	.p2align	6, 0x0
	.amdhsa_kernel _ZN4vllm29act_and_mul_kernel_with_paramIN3c104HalfE7__half2TnPFT_RKS4_fEXadL_ZNS_14fatrelu_kernelIS2_EES4_S6_fEETnPFT0_RKSA_fEXadL_ZNS_21packed_fatrelu_kernelIS3_EES4_S6_fEELb0ELb0EEEvPS4_PS5_if
		.amdhsa_group_segment_fixed_size 0
		.amdhsa_private_segment_fixed_size 0
		.amdhsa_kernarg_size 280
		.amdhsa_user_sgpr_count 15
		.amdhsa_user_sgpr_dispatch_ptr 0
		.amdhsa_user_sgpr_queue_ptr 0
		.amdhsa_user_sgpr_kernarg_segment_ptr 1
		.amdhsa_user_sgpr_dispatch_id 0
		.amdhsa_user_sgpr_private_segment_size 0
		.amdhsa_wavefront_size32 1
		.amdhsa_uses_dynamic_stack 0
		.amdhsa_enable_private_segment 0
		.amdhsa_system_sgpr_workgroup_id_x 1
		.amdhsa_system_sgpr_workgroup_id_y 0
		.amdhsa_system_sgpr_workgroup_id_z 0
		.amdhsa_system_sgpr_workgroup_info 0
		.amdhsa_system_vgpr_workitem_id 0
		.amdhsa_next_free_vgpr 19
		.amdhsa_next_free_sgpr 20
		.amdhsa_reserve_vcc 1
		.amdhsa_float_round_mode_32 0
		.amdhsa_float_round_mode_16_64 0
		.amdhsa_float_denorm_mode_32 3
		.amdhsa_float_denorm_mode_16_64 3
		.amdhsa_dx10_clamp 1
		.amdhsa_ieee_mode 1
		.amdhsa_fp16_overflow 0
		.amdhsa_workgroup_processor_mode 1
		.amdhsa_memory_ordered 1
		.amdhsa_forward_progress 0
		.amdhsa_shared_vgpr_count 0
		.amdhsa_exception_fp_ieee_invalid_op 0
		.amdhsa_exception_fp_denorm_src 0
		.amdhsa_exception_fp_ieee_div_zero 0
		.amdhsa_exception_fp_ieee_overflow 0
		.amdhsa_exception_fp_ieee_underflow 0
		.amdhsa_exception_fp_ieee_inexact 0
		.amdhsa_exception_int_div_zero 0
	.end_amdhsa_kernel
	.section	.text._ZN4vllm29act_and_mul_kernel_with_paramIN3c104HalfE7__half2TnPFT_RKS4_fEXadL_ZNS_14fatrelu_kernelIS2_EES4_S6_fEETnPFT0_RKSA_fEXadL_ZNS_21packed_fatrelu_kernelIS3_EES4_S6_fEELb0ELb0EEEvPS4_PS5_if,"axG",@progbits,_ZN4vllm29act_and_mul_kernel_with_paramIN3c104HalfE7__half2TnPFT_RKS4_fEXadL_ZNS_14fatrelu_kernelIS2_EES4_S6_fEETnPFT0_RKSA_fEXadL_ZNS_21packed_fatrelu_kernelIS3_EES4_S6_fEELb0ELb0EEEvPS4_PS5_if,comdat
.Lfunc_end54:
	.size	_ZN4vllm29act_and_mul_kernel_with_paramIN3c104HalfE7__half2TnPFT_RKS4_fEXadL_ZNS_14fatrelu_kernelIS2_EES4_S6_fEETnPFT0_RKSA_fEXadL_ZNS_21packed_fatrelu_kernelIS3_EES4_S6_fEELb0ELb0EEEvPS4_PS5_if, .Lfunc_end54-_ZN4vllm29act_and_mul_kernel_with_paramIN3c104HalfE7__half2TnPFT_RKS4_fEXadL_ZNS_14fatrelu_kernelIS2_EES4_S6_fEETnPFT0_RKSA_fEXadL_ZNS_21packed_fatrelu_kernelIS3_EES4_S6_fEELb0ELb0EEEvPS4_PS5_if
                                        ; -- End function
	.section	.AMDGPU.csdata,"",@progbits
; Kernel info:
; codeLenInByte = 1656
; NumSgprs: 22
; NumVgprs: 19
; ScratchSize: 0
; MemoryBound: 0
; FloatMode: 240
; IeeeMode: 1
; LDSByteSize: 0 bytes/workgroup (compile time only)
; SGPRBlocks: 2
; VGPRBlocks: 2
; NumSGPRsForWavesPerEU: 22
; NumVGPRsForWavesPerEU: 19
; Occupancy: 16
; WaveLimiterHint : 0
; COMPUTE_PGM_RSRC2:SCRATCH_EN: 0
; COMPUTE_PGM_RSRC2:USER_SGPR: 15
; COMPUTE_PGM_RSRC2:TRAP_HANDLER: 0
; COMPUTE_PGM_RSRC2:TGID_X_EN: 1
; COMPUTE_PGM_RSRC2:TGID_Y_EN: 0
; COMPUTE_PGM_RSRC2:TGID_Z_EN: 0
; COMPUTE_PGM_RSRC2:TIDIG_COMP_CNT: 0
	.section	.text._ZN4vllm29act_and_mul_kernel_with_paramIN3c108BFloat16E15__hip_bfloat162TnPFT_RKS4_fEXadL_ZNS_14fatrelu_kernelIS2_EES4_S6_fEETnPFT0_RKSA_fEXadL_ZNS_21packed_fatrelu_kernelIS3_EES4_S6_fEELb0ELb0EEEvPS4_PS5_if,"axG",@progbits,_ZN4vllm29act_and_mul_kernel_with_paramIN3c108BFloat16E15__hip_bfloat162TnPFT_RKS4_fEXadL_ZNS_14fatrelu_kernelIS2_EES4_S6_fEETnPFT0_RKSA_fEXadL_ZNS_21packed_fatrelu_kernelIS3_EES4_S6_fEELb0ELb0EEEvPS4_PS5_if,comdat
	.protected	_ZN4vllm29act_and_mul_kernel_with_paramIN3c108BFloat16E15__hip_bfloat162TnPFT_RKS4_fEXadL_ZNS_14fatrelu_kernelIS2_EES4_S6_fEETnPFT0_RKSA_fEXadL_ZNS_21packed_fatrelu_kernelIS3_EES4_S6_fEELb0ELb0EEEvPS4_PS5_if ; -- Begin function _ZN4vllm29act_and_mul_kernel_with_paramIN3c108BFloat16E15__hip_bfloat162TnPFT_RKS4_fEXadL_ZNS_14fatrelu_kernelIS2_EES4_S6_fEETnPFT0_RKSA_fEXadL_ZNS_21packed_fatrelu_kernelIS3_EES4_S6_fEELb0ELb0EEEvPS4_PS5_if
	.globl	_ZN4vllm29act_and_mul_kernel_with_paramIN3c108BFloat16E15__hip_bfloat162TnPFT_RKS4_fEXadL_ZNS_14fatrelu_kernelIS2_EES4_S6_fEETnPFT0_RKSA_fEXadL_ZNS_21packed_fatrelu_kernelIS3_EES4_S6_fEELb0ELb0EEEvPS4_PS5_if
	.p2align	8
	.type	_ZN4vllm29act_and_mul_kernel_with_paramIN3c108BFloat16E15__hip_bfloat162TnPFT_RKS4_fEXadL_ZNS_14fatrelu_kernelIS2_EES4_S6_fEETnPFT0_RKSA_fEXadL_ZNS_21packed_fatrelu_kernelIS3_EES4_S6_fEELb0ELb0EEEvPS4_PS5_if,@function
_ZN4vllm29act_and_mul_kernel_with_paramIN3c108BFloat16E15__hip_bfloat162TnPFT_RKS4_fEXadL_ZNS_14fatrelu_kernelIS2_EES4_S6_fEETnPFT0_RKSA_fEXadL_ZNS_21packed_fatrelu_kernelIS3_EES4_S6_fEELb0ELb0EEEvPS4_PS5_if: ; @_ZN4vllm29act_and_mul_kernel_with_paramIN3c108BFloat16E15__hip_bfloat162TnPFT_RKS4_fEXadL_ZNS_14fatrelu_kernelIS2_EES4_S6_fEETnPFT0_RKSA_fEXadL_ZNS_21packed_fatrelu_kernelIS3_EES4_S6_fEELb0ELb0EEEvPS4_PS5_if
; %bb.0:
	s_load_b64 s[8:9], s[0:1], 0x10
	s_mov_b32 s2, exec_lo
	s_waitcnt lgkmcnt(0)
	v_cmpx_gt_i32_e64 s8, v0
	s_cbranch_execz .LBB55_12
; %bb.1:
	s_load_b32 s2, s[0:1], 0x24
	s_ashr_i32 s11, s8, 31
	s_mov_b32 s10, s8
	s_waitcnt lgkmcnt(0)
	s_and_b32 s16, s2, 0xffff
	s_delay_alu instid0(SALU_CYCLE_1) | instskip(NEXT) | instid1(VALU_DEP_1)
	v_add_co_u32 v1, s2, v0, s16
	v_add_co_ci_u32_e64 v2, null, 0, 0, s2
	s_delay_alu instid0(VALU_DEP_1) | instskip(SKIP_1) | instid1(VALU_DEP_2)
	v_cmp_gt_i64_e64 s2, s[10:11], v[1:2]
	v_cmp_lt_i64_e32 vcc_lo, s[10:11], v[1:2]
	v_cndmask_b32_e64 v6, 0, 1, s2
	v_cndmask_b32_e32 v3, s11, v2, vcc_lo
	v_cndmask_b32_e32 v4, s10, v1, vcc_lo
	s_mov_b32 s2, exec_lo
	s_delay_alu instid0(VALU_DEP_3) | instskip(SKIP_2) | instid1(VALU_DEP_3)
	v_add_co_u32 v5, vcc_lo, v1, v6
	v_mov_b32_e32 v1, 0
	v_add_co_ci_u32_e32 v2, vcc_lo, 0, v2, vcc_lo
	v_sub_co_u32 v7, vcc_lo, v4, v5
                                        ; implicit-def: $vgpr4_vgpr5
	s_delay_alu instid0(VALU_DEP_2) | instskip(NEXT) | instid1(VALU_DEP_4)
	v_sub_co_ci_u32_e32 v3, vcc_lo, v3, v2, vcc_lo
	v_mov_b32_e32 v2, v1
	s_delay_alu instid0(VALU_DEP_1)
	v_cmpx_ne_u64_e32 0, v[2:3]
	s_xor_b32 s3, exec_lo, s2
	s_cbranch_execz .LBB55_3
; %bb.2:
	v_cvt_f32_u32_e32 v2, s16
	s_sub_u32 s2, 0, s16
	s_subb_u32 s4, 0, 0
	s_delay_alu instid0(VALU_DEP_1) | instskip(NEXT) | instid1(VALU_DEP_1)
	v_fmamk_f32 v2, 0, 0x4f800000, v2
	v_rcp_f32_e32 v2, v2
	s_waitcnt_depctr 0xfff
	v_mul_f32_e32 v2, 0x5f7ffffc, v2
	s_delay_alu instid0(VALU_DEP_1) | instskip(NEXT) | instid1(VALU_DEP_1)
	v_mul_f32_e32 v4, 0x2f800000, v2
	v_trunc_f32_e32 v4, v4
	s_delay_alu instid0(VALU_DEP_1) | instskip(SKIP_1) | instid1(VALU_DEP_2)
	v_fmamk_f32 v2, v4, 0xcf800000, v2
	v_cvt_u32_f32_e32 v4, v4
	v_cvt_u32_f32_e32 v2, v2
	s_delay_alu instid0(VALU_DEP_2) | instskip(NEXT) | instid1(VALU_DEP_2)
	v_mul_lo_u32 v5, s2, v4
	v_mul_hi_u32 v8, s2, v2
	v_mul_lo_u32 v9, s4, v2
	s_delay_alu instid0(VALU_DEP_2) | instskip(SKIP_1) | instid1(VALU_DEP_2)
	v_add_nc_u32_e32 v5, v8, v5
	v_mul_lo_u32 v8, s2, v2
	v_add_nc_u32_e32 v5, v5, v9
	s_delay_alu instid0(VALU_DEP_2) | instskip(NEXT) | instid1(VALU_DEP_2)
	v_mul_hi_u32 v9, v2, v8
	v_mul_lo_u32 v10, v2, v5
	v_mul_hi_u32 v11, v2, v5
	v_mul_hi_u32 v12, v4, v8
	v_mul_lo_u32 v8, v4, v8
	v_mul_hi_u32 v13, v4, v5
	v_mul_lo_u32 v5, v4, v5
	v_add_co_u32 v9, vcc_lo, v9, v10
	v_add_co_ci_u32_e32 v10, vcc_lo, 0, v11, vcc_lo
	s_delay_alu instid0(VALU_DEP_2) | instskip(NEXT) | instid1(VALU_DEP_2)
	v_add_co_u32 v8, vcc_lo, v9, v8
	v_add_co_ci_u32_e32 v8, vcc_lo, v10, v12, vcc_lo
	v_add_co_ci_u32_e32 v9, vcc_lo, 0, v13, vcc_lo
	s_delay_alu instid0(VALU_DEP_2) | instskip(NEXT) | instid1(VALU_DEP_2)
	v_add_co_u32 v5, vcc_lo, v8, v5
	v_add_co_ci_u32_e32 v8, vcc_lo, 0, v9, vcc_lo
	s_delay_alu instid0(VALU_DEP_2) | instskip(NEXT) | instid1(VALU_DEP_2)
	v_add_co_u32 v2, vcc_lo, v2, v5
	v_add_co_ci_u32_e32 v4, vcc_lo, v4, v8, vcc_lo
	s_delay_alu instid0(VALU_DEP_2) | instskip(SKIP_1) | instid1(VALU_DEP_3)
	v_mul_hi_u32 v5, s2, v2
	v_mul_lo_u32 v9, s4, v2
	v_mul_lo_u32 v8, s2, v4
	s_delay_alu instid0(VALU_DEP_1) | instskip(SKIP_1) | instid1(VALU_DEP_2)
	v_add_nc_u32_e32 v5, v5, v8
	v_mul_lo_u32 v8, s2, v2
	v_add_nc_u32_e32 v5, v5, v9
	s_delay_alu instid0(VALU_DEP_2) | instskip(NEXT) | instid1(VALU_DEP_2)
	v_mul_hi_u32 v9, v2, v8
	v_mul_lo_u32 v10, v2, v5
	v_mul_hi_u32 v11, v2, v5
	v_mul_hi_u32 v12, v4, v8
	v_mul_lo_u32 v8, v4, v8
	v_mul_hi_u32 v13, v4, v5
	v_mul_lo_u32 v5, v4, v5
	v_add_co_u32 v9, vcc_lo, v9, v10
	v_add_co_ci_u32_e32 v10, vcc_lo, 0, v11, vcc_lo
	s_delay_alu instid0(VALU_DEP_2) | instskip(NEXT) | instid1(VALU_DEP_2)
	v_add_co_u32 v8, vcc_lo, v9, v8
	v_add_co_ci_u32_e32 v8, vcc_lo, v10, v12, vcc_lo
	v_add_co_ci_u32_e32 v9, vcc_lo, 0, v13, vcc_lo
	s_delay_alu instid0(VALU_DEP_2) | instskip(NEXT) | instid1(VALU_DEP_2)
	v_add_co_u32 v5, vcc_lo, v8, v5
	v_add_co_ci_u32_e32 v8, vcc_lo, 0, v9, vcc_lo
	s_delay_alu instid0(VALU_DEP_2) | instskip(NEXT) | instid1(VALU_DEP_2)
	v_add_co_u32 v2, vcc_lo, v2, v5
	v_add_co_ci_u32_e32 v12, vcc_lo, v4, v8, vcc_lo
	s_delay_alu instid0(VALU_DEP_2) | instskip(SKIP_1) | instid1(VALU_DEP_3)
	v_mul_hi_u32 v13, v7, v2
	v_mad_u64_u32 v[8:9], null, v3, v2, 0
	v_mad_u64_u32 v[4:5], null, v7, v12, 0
	;; [unrolled: 1-line block ×3, first 2 shown]
	s_delay_alu instid0(VALU_DEP_2) | instskip(NEXT) | instid1(VALU_DEP_3)
	v_add_co_u32 v2, vcc_lo, v13, v4
	v_add_co_ci_u32_e32 v4, vcc_lo, 0, v5, vcc_lo
	s_delay_alu instid0(VALU_DEP_2) | instskip(NEXT) | instid1(VALU_DEP_2)
	v_add_co_u32 v2, vcc_lo, v2, v8
	v_add_co_ci_u32_e32 v2, vcc_lo, v4, v9, vcc_lo
	v_add_co_ci_u32_e32 v4, vcc_lo, 0, v11, vcc_lo
	s_delay_alu instid0(VALU_DEP_2) | instskip(NEXT) | instid1(VALU_DEP_2)
	v_add_co_u32 v10, vcc_lo, v2, v10
	v_add_co_ci_u32_e32 v11, vcc_lo, 0, v4, vcc_lo
	s_delay_alu instid0(VALU_DEP_2) | instskip(NEXT) | instid1(VALU_DEP_1)
	v_mad_u64_u32 v[4:5], null, s16, v10, 0
	v_mov_b32_e32 v2, v5
	s_delay_alu instid0(VALU_DEP_1) | instskip(NEXT) | instid1(VALU_DEP_3)
	v_mad_u64_u32 v[8:9], null, s16, v11, v[2:3]
	v_sub_co_u32 v2, vcc_lo, v7, v4
	s_delay_alu instid0(VALU_DEP_2) | instskip(NEXT) | instid1(VALU_DEP_2)
	v_sub_co_ci_u32_e32 v3, vcc_lo, v3, v8, vcc_lo
	v_sub_co_u32 v4, vcc_lo, v2, s16
	s_delay_alu instid0(VALU_DEP_2) | instskip(NEXT) | instid1(VALU_DEP_2)
	v_subrev_co_ci_u32_e32 v5, vcc_lo, 0, v3, vcc_lo
	v_cmp_le_u32_e32 vcc_lo, s16, v4
	v_cmp_eq_u32_e64 s2, 0, v3
	v_cndmask_b32_e64 v4, 0, -1, vcc_lo
	v_add_co_u32 v7, vcc_lo, v10, 2
	v_add_co_ci_u32_e32 v8, vcc_lo, 0, v11, vcc_lo
	v_cmp_le_u32_e32 vcc_lo, s16, v2
	v_cndmask_b32_e64 v2, 0, -1, vcc_lo
	v_cmp_eq_u32_e32 vcc_lo, 0, v5
	s_delay_alu instid0(VALU_DEP_2) | instskip(SKIP_3) | instid1(VALU_DEP_3)
	v_cndmask_b32_e64 v2, -1, v2, s2
	v_cndmask_b32_e32 v4, -1, v4, vcc_lo
	v_add_co_u32 v5, vcc_lo, v10, 1
	v_add_co_ci_u32_e32 v9, vcc_lo, 0, v11, vcc_lo
	v_cmp_ne_u32_e32 vcc_lo, 0, v4
	s_delay_alu instid0(VALU_DEP_2) | instskip(NEXT) | instid1(VALU_DEP_4)
	v_cndmask_b32_e32 v3, v9, v8, vcc_lo
	v_cndmask_b32_e32 v4, v5, v7, vcc_lo
	v_cmp_ne_u32_e32 vcc_lo, 0, v2
                                        ; implicit-def: $vgpr7
	s_delay_alu instid0(VALU_DEP_2)
	v_dual_cndmask_b32 v5, v11, v3 :: v_dual_cndmask_b32 v4, v10, v4
.LBB55_3:
	s_or_saveexec_b32 s2, s3
	s_load_b128 s[4:7], s[0:1], 0x0
	s_xor_b32 exec_lo, exec_lo, s2
	s_cbranch_execz .LBB55_5
; %bb.4:
	v_cvt_f32_u32_e32 v2, s16
	s_sub_i32 s0, 0, s16
	s_delay_alu instid0(VALU_DEP_1) | instskip(SKIP_2) | instid1(VALU_DEP_1)
	v_rcp_iflag_f32_e32 v2, v2
	s_waitcnt_depctr 0xfff
	v_mul_f32_e32 v2, 0x4f7ffffe, v2
	v_cvt_u32_f32_e32 v2, v2
	s_delay_alu instid0(VALU_DEP_1) | instskip(NEXT) | instid1(VALU_DEP_1)
	v_mul_lo_u32 v3, s0, v2
	v_mul_hi_u32 v3, v2, v3
	s_delay_alu instid0(VALU_DEP_1) | instskip(NEXT) | instid1(VALU_DEP_1)
	v_add_nc_u32_e32 v2, v2, v3
	v_mul_hi_u32 v2, v7, v2
	s_delay_alu instid0(VALU_DEP_1) | instskip(SKIP_1) | instid1(VALU_DEP_2)
	v_mul_lo_u32 v3, v2, s16
	v_add_nc_u32_e32 v4, 1, v2
	v_sub_nc_u32_e32 v3, v7, v3
	s_delay_alu instid0(VALU_DEP_1) | instskip(SKIP_1) | instid1(VALU_DEP_2)
	v_subrev_nc_u32_e32 v5, s16, v3
	v_cmp_le_u32_e32 vcc_lo, s16, v3
	v_cndmask_b32_e32 v3, v3, v5, vcc_lo
	v_dual_mov_b32 v5, 0 :: v_dual_cndmask_b32 v2, v2, v4
	s_delay_alu instid0(VALU_DEP_2) | instskip(NEXT) | instid1(VALU_DEP_2)
	v_cmp_le_u32_e32 vcc_lo, s16, v3
	v_add_nc_u32_e32 v4, 1, v2
	s_delay_alu instid0(VALU_DEP_1)
	v_cndmask_b32_e32 v4, v2, v4, vcc_lo
.LBB55_5:
	s_or_b32 exec_lo, exec_lo, s2
	s_delay_alu instid0(VALU_DEP_1) | instskip(SKIP_2) | instid1(VALU_DEP_3)
	v_add_co_u32 v2, vcc_lo, v4, v6
	v_add_co_ci_u32_e32 v3, vcc_lo, 0, v5, vcc_lo
	v_cmp_eq_u16_e64 s0, s16, 1
	v_add_co_u32 v2, vcc_lo, v2, 1
	s_delay_alu instid0(VALU_DEP_3) | instskip(SKIP_3) | instid1(VALU_DEP_1)
	v_add_co_ci_u32_e32 v3, vcc_lo, 0, v3, vcc_lo
	s_mul_i32 s2, s15, s8
	s_mov_b32 s13, 0
	s_lshl_b32 s12, s2, 1
	v_cmp_lt_u64_e32 vcc_lo, 1, v[2:3]
	s_mov_b32 s3, s13
	s_and_b32 s8, vcc_lo, s0
	s_mov_b32 s0, -1
	s_and_saveexec_b32 s1, s8
	s_cbranch_execz .LBB55_9
; %bb.6:
	v_lshlrev_b32_e32 v6, 1, v0
	s_lshl_b64 s[14:15], s[12:13], 1
	v_dual_mov_b32 v5, v3 :: v_dual_and_b32 v4, -2, v2
	s_waitcnt lgkmcnt(0)
	s_add_u32 s0, s6, s14
	s_addc_u32 s8, s7, s15
	v_add_co_u32 v8, s0, s0, v6
	s_lshl_b64 s[18:19], s[2:3], 1
	v_add_co_ci_u32_e64 v9, null, s8, 0, s0
	s_lshl_b32 s8, s16, 2
	s_lshl_b64 s[14:15], s[10:11], 1
	s_add_u32 s0, s4, s18
	v_add_co_u32 v10, vcc_lo, v8, s14
	s_addc_u32 s14, s5, s19
	v_add_co_u32 v12, s0, s0, v6
	v_add_co_ci_u32_e32 v11, vcc_lo, s15, v9, vcc_lo
	v_add_co_ci_u32_e64 v13, null, s14, 0, s0
	v_dual_mov_b32 v7, v5 :: v_dual_mov_b32 v6, v4
	s_mov_b32 s17, s9
	s_mov_b64 s[14:15], 0
	s_mov_b32 s18, s13
.LBB55_7:                               ; =>This Inner Loop Header: Depth=1
	v_add_co_u32 v14, vcc_lo, v8, s14
	v_add_co_ci_u32_e32 v15, vcc_lo, s15, v9, vcc_lo
	global_load_b32 v16, v[14:15], off
	v_add_co_u32 v14, vcc_lo, v10, s14
	v_add_co_ci_u32_e32 v15, vcc_lo, s15, v11, vcc_lo
	global_load_b32 v14, v[14:15], off
	s_waitcnt vmcnt(0)
	v_and_b32_e32 v19, 0xffff0000, v14
	v_lshlrev_b32_e32 v14, 16, v14
	v_and_b32_e32 v15, 0xffff0000, v16
	s_delay_alu instid0(VALU_DEP_1) | instskip(SKIP_1) | instid1(VALU_DEP_1)
	v_cmp_lt_f32_e32 vcc_lo, s9, v15
	v_dual_cndmask_b32 v15, 0, v15 :: v_dual_lshlrev_b32 v16, 16, v16
	v_cmp_lt_f32_e32 vcc_lo, s17, v16
	s_delay_alu instid0(VALU_DEP_2) | instskip(SKIP_1) | instid1(VALU_DEP_2)
	v_lshrrev_b32_e32 v17, 16, v15
	v_cmp_o_f32_e64 s0, v15, v15
	v_and_or_b32 v17, v17, 1, v15
	s_delay_alu instid0(VALU_DEP_1) | instskip(NEXT) | instid1(VALU_DEP_1)
	v_dual_cndmask_b32 v16, 0, v16 :: v_dual_add_nc_u32 v17, 0x7fff, v17
	v_lshrrev_b32_e32 v18, 16, v16
	v_cmp_o_f32_e32 vcc_lo, v16, v16
	s_delay_alu instid0(VALU_DEP_3) | instskip(NEXT) | instid1(VALU_DEP_3)
	v_and_b32_e32 v17, 0xffff0000, v17
	v_and_or_b32 v18, v18, 1, v16
	s_delay_alu instid0(VALU_DEP_2) | instskip(NEXT) | instid1(VALU_DEP_1)
	v_cndmask_b32_e64 v15, 0x7fc00000, v17, s0
	v_dual_mul_f32 v15, v15, v19 :: v_dual_add_nc_u32 v18, 0x7fff, v18
	s_delay_alu instid0(VALU_DEP_1) | instskip(NEXT) | instid1(VALU_DEP_2)
	v_and_b32_e32 v18, 0xffff0000, v18
	v_cmp_o_f32_e64 s0, v15, v15
	s_delay_alu instid0(VALU_DEP_2) | instskip(SKIP_2) | instid1(VALU_DEP_3)
	v_cndmask_b32_e32 v16, 0x7fc00000, v18, vcc_lo
	v_add_co_u32 v6, vcc_lo, v6, -2
	v_add_co_ci_u32_e32 v7, vcc_lo, -1, v7, vcc_lo
	v_mul_f32_e32 v14, v16, v14
	v_bfe_u32 v16, v15, 16, 1
	s_delay_alu instid0(VALU_DEP_2) | instskip(NEXT) | instid1(VALU_DEP_2)
	v_bfe_u32 v17, v14, 16, 1
	v_add3_u32 v16, v15, v16, 0x7fff
	v_cmp_o_f32_e32 vcc_lo, v14, v14
	s_delay_alu instid0(VALU_DEP_3) | instskip(NEXT) | instid1(VALU_DEP_3)
	v_add3_u32 v17, v14, v17, 0x7fff
	v_lshrrev_b32_e32 v16, 16, v16
	s_delay_alu instid0(VALU_DEP_2) | instskip(NEXT) | instid1(VALU_DEP_2)
	v_lshrrev_b32_e32 v17, 16, v17
	v_cndmask_b32_e64 v16, 0x7fc0, v16, s0
	v_cmp_eq_u64_e64 s0, 0, v[6:7]
	s_delay_alu instid0(VALU_DEP_3) | instskip(SKIP_2) | instid1(VALU_DEP_3)
	v_cndmask_b32_e32 v17, 0x7fc0, v17, vcc_lo
	v_add_co_u32 v14, vcc_lo, v12, s14
	v_add_co_ci_u32_e32 v15, vcc_lo, s15, v13, vcc_lo
	v_perm_b32 v16, v16, v17, 0x5040100
	s_add_u32 s14, s14, s8
	s_addc_u32 s15, s15, 0
	s_or_b32 s18, s0, s18
	global_store_b32 v[14:15], v16, off
	s_and_not1_b32 exec_lo, exec_lo, s18
	s_cbranch_execnz .LBB55_7
; %bb.8:
	s_or_b32 exec_lo, exec_lo, s18
	v_mad_u64_u32 v[6:7], null, v4, s16, v[0:1]
	v_cmp_ne_u64_e32 vcc_lo, v[2:3], v[4:5]
	s_or_not1_b32 s0, vcc_lo, exec_lo
	s_delay_alu instid0(VALU_DEP_2) | instskip(NEXT) | instid1(VALU_DEP_1)
	v_mov_b32_e32 v0, v7
	v_mad_u64_u32 v[7:8], null, v5, s16, v[0:1]
	s_delay_alu instid0(VALU_DEP_1)
	v_dual_mov_b32 v0, v6 :: v_dual_mov_b32 v1, v7
.LBB55_9:
	s_or_b32 exec_lo, exec_lo, s1
	s_delay_alu instid0(SALU_CYCLE_1)
	s_and_b32 exec_lo, exec_lo, s0
	s_cbranch_execz .LBB55_12
; %bb.10:
	s_lshl_b64 s[0:1], s[12:13], 1
	v_lshlrev_b64 v[2:3], 1, v[0:1]
	s_waitcnt lgkmcnt(0)
	s_add_u32 s6, s6, s0
	s_addc_u32 s7, s7, s1
	s_lshl_b64 s[0:1], s[10:11], 1
	s_delay_alu instid0(SALU_CYCLE_1) | instskip(SKIP_2) | instid1(SALU_CYCLE_1)
	s_add_u32 s8, s6, s0
	s_addc_u32 s12, s7, s1
	s_lshl_b64 s[0:1], s[2:3], 1
	s_add_u32 s2, s4, s0
	s_addc_u32 s3, s5, s1
	s_lshl_b32 s4, s16, 1
	s_mov_b32 s5, 0
.LBB55_11:                              ; =>This Inner Loop Header: Depth=1
	v_add_co_u32 v4, vcc_lo, s6, v2
	v_add_co_ci_u32_e32 v5, vcc_lo, s7, v3, vcc_lo
	global_load_u16 v6, v[4:5], off
	v_add_co_u32 v4, vcc_lo, s8, v2
	v_add_co_ci_u32_e32 v5, vcc_lo, s12, v3, vcc_lo
	global_load_u16 v4, v[4:5], off
	s_waitcnt vmcnt(1)
	v_lshlrev_b32_e32 v5, 16, v6
	s_delay_alu instid0(VALU_DEP_1) | instskip(SKIP_1) | instid1(VALU_DEP_1)
	v_cmp_lt_f32_e32 vcc_lo, s9, v5
	v_cndmask_b32_e32 v5, 0, v5, vcc_lo
	v_lshrrev_b32_e32 v6, 16, v5
	s_delay_alu instid0(VALU_DEP_1) | instskip(NEXT) | instid1(VALU_DEP_1)
	v_and_or_b32 v6, v6, 1, v5
	v_add_nc_u32_e32 v6, 0x7fff, v6
	v_cmp_o_f32_e32 vcc_lo, v5, v5
	s_delay_alu instid0(VALU_DEP_2) | instskip(SKIP_1) | instid1(VALU_DEP_1)
	v_and_b32_e32 v6, 0xffff0000, v6
	s_waitcnt vmcnt(0)
	v_dual_cndmask_b32 v5, 0x7fc00000, v6 :: v_dual_lshlrev_b32 v4, 16, v4
	v_add_co_u32 v0, vcc_lo, v0, s16
	v_add_co_ci_u32_e32 v1, vcc_lo, 0, v1, vcc_lo
	s_delay_alu instid0(VALU_DEP_3) | instskip(NEXT) | instid1(VALU_DEP_2)
	v_mul_f32_e32 v6, v5, v4
	v_cmp_le_i64_e64 s0, s[10:11], v[0:1]
	s_delay_alu instid0(VALU_DEP_2) | instskip(SKIP_1) | instid1(VALU_DEP_3)
	v_bfe_u32 v4, v6, 16, 1
	v_cmp_o_f32_e64 s1, v6, v6
	s_or_b32 s5, s0, s5
	s_delay_alu instid0(VALU_DEP_2) | instskip(SKIP_2) | instid1(VALU_DEP_3)
	v_add3_u32 v7, v6, v4, 0x7fff
	v_add_co_u32 v4, vcc_lo, s2, v2
	v_add_co_ci_u32_e32 v5, vcc_lo, s3, v3, vcc_lo
	v_lshrrev_b32_e32 v7, 16, v7
	v_add_co_u32 v2, vcc_lo, v2, s4
	v_add_co_ci_u32_e32 v3, vcc_lo, 0, v3, vcc_lo
	s_delay_alu instid0(VALU_DEP_3)
	v_cndmask_b32_e64 v6, 0x7fc0, v7, s1
	global_store_b16 v[4:5], v6, off
	s_and_not1_b32 exec_lo, exec_lo, s5
	s_cbranch_execnz .LBB55_11
.LBB55_12:
	s_nop 0
	s_sendmsg sendmsg(MSG_DEALLOC_VGPRS)
	s_endpgm
	.section	.rodata,"a",@progbits
	.p2align	6, 0x0
	.amdhsa_kernel _ZN4vllm29act_and_mul_kernel_with_paramIN3c108BFloat16E15__hip_bfloat162TnPFT_RKS4_fEXadL_ZNS_14fatrelu_kernelIS2_EES4_S6_fEETnPFT0_RKSA_fEXadL_ZNS_21packed_fatrelu_kernelIS3_EES4_S6_fEELb0ELb0EEEvPS4_PS5_if
		.amdhsa_group_segment_fixed_size 0
		.amdhsa_private_segment_fixed_size 0
		.amdhsa_kernarg_size 280
		.amdhsa_user_sgpr_count 15
		.amdhsa_user_sgpr_dispatch_ptr 0
		.amdhsa_user_sgpr_queue_ptr 0
		.amdhsa_user_sgpr_kernarg_segment_ptr 1
		.amdhsa_user_sgpr_dispatch_id 0
		.amdhsa_user_sgpr_private_segment_size 0
		.amdhsa_wavefront_size32 1
		.amdhsa_uses_dynamic_stack 0
		.amdhsa_enable_private_segment 0
		.amdhsa_system_sgpr_workgroup_id_x 1
		.amdhsa_system_sgpr_workgroup_id_y 0
		.amdhsa_system_sgpr_workgroup_id_z 0
		.amdhsa_system_sgpr_workgroup_info 0
		.amdhsa_system_vgpr_workitem_id 0
		.amdhsa_next_free_vgpr 20
		.amdhsa_next_free_sgpr 20
		.amdhsa_reserve_vcc 1
		.amdhsa_float_round_mode_32 0
		.amdhsa_float_round_mode_16_64 0
		.amdhsa_float_denorm_mode_32 3
		.amdhsa_float_denorm_mode_16_64 3
		.amdhsa_dx10_clamp 1
		.amdhsa_ieee_mode 1
		.amdhsa_fp16_overflow 0
		.amdhsa_workgroup_processor_mode 1
		.amdhsa_memory_ordered 1
		.amdhsa_forward_progress 0
		.amdhsa_shared_vgpr_count 0
		.amdhsa_exception_fp_ieee_invalid_op 0
		.amdhsa_exception_fp_denorm_src 0
		.amdhsa_exception_fp_ieee_div_zero 0
		.amdhsa_exception_fp_ieee_overflow 0
		.amdhsa_exception_fp_ieee_underflow 0
		.amdhsa_exception_fp_ieee_inexact 0
		.amdhsa_exception_int_div_zero 0
	.end_amdhsa_kernel
	.section	.text._ZN4vllm29act_and_mul_kernel_with_paramIN3c108BFloat16E15__hip_bfloat162TnPFT_RKS4_fEXadL_ZNS_14fatrelu_kernelIS2_EES4_S6_fEETnPFT0_RKSA_fEXadL_ZNS_21packed_fatrelu_kernelIS3_EES4_S6_fEELb0ELb0EEEvPS4_PS5_if,"axG",@progbits,_ZN4vllm29act_and_mul_kernel_with_paramIN3c108BFloat16E15__hip_bfloat162TnPFT_RKS4_fEXadL_ZNS_14fatrelu_kernelIS2_EES4_S6_fEETnPFT0_RKSA_fEXadL_ZNS_21packed_fatrelu_kernelIS3_EES4_S6_fEELb0ELb0EEEvPS4_PS5_if,comdat
.Lfunc_end55:
	.size	_ZN4vllm29act_and_mul_kernel_with_paramIN3c108BFloat16E15__hip_bfloat162TnPFT_RKS4_fEXadL_ZNS_14fatrelu_kernelIS2_EES4_S6_fEETnPFT0_RKSA_fEXadL_ZNS_21packed_fatrelu_kernelIS3_EES4_S6_fEELb0ELb0EEEvPS4_PS5_if, .Lfunc_end55-_ZN4vllm29act_and_mul_kernel_with_paramIN3c108BFloat16E15__hip_bfloat162TnPFT_RKS4_fEXadL_ZNS_14fatrelu_kernelIS2_EES4_S6_fEETnPFT0_RKSA_fEXadL_ZNS_21packed_fatrelu_kernelIS3_EES4_S6_fEELb0ELb0EEEvPS4_PS5_if
                                        ; -- End function
	.section	.AMDGPU.csdata,"",@progbits
; Kernel info:
; codeLenInByte = 1944
; NumSgprs: 22
; NumVgprs: 20
; ScratchSize: 0
; MemoryBound: 0
; FloatMode: 240
; IeeeMode: 1
; LDSByteSize: 0 bytes/workgroup (compile time only)
; SGPRBlocks: 2
; VGPRBlocks: 2
; NumSGPRsForWavesPerEU: 22
; NumVGPRsForWavesPerEU: 20
; Occupancy: 16
; WaveLimiterHint : 0
; COMPUTE_PGM_RSRC2:SCRATCH_EN: 0
; COMPUTE_PGM_RSRC2:USER_SGPR: 15
; COMPUTE_PGM_RSRC2:TRAP_HANDLER: 0
; COMPUTE_PGM_RSRC2:TGID_X_EN: 1
; COMPUTE_PGM_RSRC2:TGID_Y_EN: 0
; COMPUTE_PGM_RSRC2:TGID_Z_EN: 0
; COMPUTE_PGM_RSRC2:TIDIG_COMP_CNT: 0
	.section	.text._ZN4vllm24swigluoai_and_mul_kernelIfTnPFT_RKS1_S3_ffEXadL_ZNS_17swigluoai_and_mulIfEES1_S3_S3_ffEEEEvPS1_PS2_iff,"axG",@progbits,_ZN4vllm24swigluoai_and_mul_kernelIfTnPFT_RKS1_S3_ffEXadL_ZNS_17swigluoai_and_mulIfEES1_S3_S3_ffEEEEvPS1_PS2_iff,comdat
	.protected	_ZN4vllm24swigluoai_and_mul_kernelIfTnPFT_RKS1_S3_ffEXadL_ZNS_17swigluoai_and_mulIfEES1_S3_S3_ffEEEEvPS1_PS2_iff ; -- Begin function _ZN4vllm24swigluoai_and_mul_kernelIfTnPFT_RKS1_S3_ffEXadL_ZNS_17swigluoai_and_mulIfEES1_S3_S3_ffEEEEvPS1_PS2_iff
	.globl	_ZN4vllm24swigluoai_and_mul_kernelIfTnPFT_RKS1_S3_ffEXadL_ZNS_17swigluoai_and_mulIfEES1_S3_S3_ffEEEEvPS1_PS2_iff
	.p2align	8
	.type	_ZN4vllm24swigluoai_and_mul_kernelIfTnPFT_RKS1_S3_ffEXadL_ZNS_17swigluoai_and_mulIfEES1_S3_S3_ffEEEEvPS1_PS2_iff,@function
_ZN4vllm24swigluoai_and_mul_kernelIfTnPFT_RKS1_S3_ffEXadL_ZNS_17swigluoai_and_mulIfEES1_S3_S3_ffEEEEvPS1_PS2_iff: ; @_ZN4vllm24swigluoai_and_mul_kernelIfTnPFT_RKS1_S3_ffEXadL_ZNS_17swigluoai_and_mulIfEES1_S3_S3_ffEEEEvPS1_PS2_iff
; %bb.0:
	s_load_b256 s[4:11], s[0:1], 0x0
	s_waitcnt lgkmcnt(0)
	s_ashr_i32 s13, s8, 31
	s_mul_hi_u32 s2, s8, s15
	s_mul_i32 s3, s13, s15
	s_mul_i32 s18, s8, s15
	s_add_i32 s19, s2, s3
	s_mov_b32 s3, 0
	s_lshl_b64 s[16:17], s[18:19], 3
	s_mov_b32 s12, s8
	s_add_u32 s11, s6, s16
	s_addc_u32 s20, s7, s17
	s_and_b32 s2, s11, 15
	s_delay_alu instid0(SALU_CYCLE_1) | instskip(SKIP_1) | instid1(SALU_CYCLE_1)
	s_cmp_lg_u64 s[2:3], 0
	s_cselect_b32 s2, -1, 0
	s_and_b32 vcc_lo, exec_lo, s2
	s_cbranch_vccz .LBB56_3
; %bb.1:
                                        ; implicit-def: $sgpr14_sgpr15
	s_and_not1_b32 vcc_lo, exec_lo, s2
	s_cbranch_vccz .LBB56_4
.LBB56_2:
	s_and_not1_b32 vcc_lo, exec_lo, s3
	s_cbranch_vccz .LBB56_8
	s_branch .LBB56_14
.LBB56_3:
	s_lshl_b64 s[2:3], s[18:19], 2
	s_mov_b32 s23, 0
	s_add_u32 s14, s4, s2
	s_addc_u32 s15, s5, s3
	s_and_b32 s22, s14, 7
	s_delay_alu instid0(SALU_CYCLE_1) | instskip(SKIP_3) | instid1(SALU_CYCLE_1)
	s_cmp_lg_u64 s[22:23], 0
	s_cselect_b32 s2, -1, 0
	s_cmp_lt_i32 s12, 2
	s_cselect_b32 s3, -1, 0
	s_or_b32 s2, s3, s2
	s_mov_b32 s3, -1
	s_and_not1_b32 vcc_lo, exec_lo, s2
	s_cbranch_vccnz .LBB56_2
.LBB56_4:
	s_mov_b32 s3, exec_lo
	v_cmpx_gt_i32_e64 s12, v0
	s_cbranch_execz .LBB56_7
; %bb.5:
	s_load_b32 s2, s[0:1], 0x2c
	v_dual_mov_b32 v1, 0 :: v_dual_lshlrev_b32 v2, 3, v0
	v_lshlrev_b32_e32 v3, 2, v0
	v_max_f32_e64 v8, s10, s10
	v_max_f32_e64 v9, -s10, -s10
	s_delay_alu instid0(VALU_DEP_4)
	v_dual_mov_b32 v7, v1 :: v_dual_mov_b32 v6, v0
	s_waitcnt lgkmcnt(0)
	s_and_b32 s8, s2, 0xffff
	s_add_u32 s2, s6, s16
	s_addc_u32 s24, s7, s17
	v_add_co_u32 v4, s2, s2, v2
	s_lshl_b64 s[22:23], s[18:19], 2
	s_lshl_b32 s21, s8, 3
	v_add_co_ci_u32_e64 v5, null, s24, 0, s2
	s_add_u32 s2, s4, s22
	s_addc_u32 s22, s5, s23
	v_add_co_u32 v2, s2, s2, v3
	v_add_co_u32 v4, vcc_lo, v4, 4
	v_add_co_ci_u32_e64 v3, null, s22, 0, s2
	v_add_co_ci_u32_e32 v5, vcc_lo, 0, v5, vcc_lo
	s_mov_b32 s22, 0
	s_lshl_b32 s23, s8, 2
.LBB56_6:                               ; =>This Inner Loop Header: Depth=1
	global_load_b64 v[10:11], v[4:5], off offset:-4
	v_add_co_u32 v6, vcc_lo, v6, s8
	v_add_co_ci_u32_e32 v7, vcc_lo, 0, v7, vcc_lo
	v_add_co_u32 v4, vcc_lo, v4, s21
	v_add_co_ci_u32_e32 v5, vcc_lo, 0, v5, vcc_lo
	s_waitcnt vmcnt(0)
	v_dual_max_f32 v1, v10, v10 :: v_dual_max_f32 v10, v11, v11
	s_delay_alu instid0(VALU_DEP_1) | instskip(NEXT) | instid1(VALU_DEP_1)
	v_minmax_f32 v10, v10, v8, v9
	v_dual_min_f32 v1, v1, v8 :: v_dual_add_f32 v10, 1.0, v10
	s_delay_alu instid0(VALU_DEP_1) | instskip(NEXT) | instid1(VALU_DEP_1)
	v_mul_f32_e64 v11, -v1, s9
	v_dual_mul_f32 v1, v1, v10 :: v_dual_mul_f32 v12, 0x3fb8aa3b, v11
	v_cmp_ngt_f32_e64 s2, 0xc2ce8ed0, v11
	s_delay_alu instid0(VALU_DEP_2) | instskip(SKIP_1) | instid1(VALU_DEP_2)
	v_fma_f32 v10, 0x3fb8aa3b, v11, -v12
	v_rndne_f32_e32 v13, v12
	v_fmac_f32_e32 v10, 0x32a5705f, v11
	s_delay_alu instid0(VALU_DEP_2) | instskip(NEXT) | instid1(VALU_DEP_1)
	v_sub_f32_e32 v12, v12, v13
	v_add_f32_e32 v10, v12, v10
	v_cvt_i32_f32_e32 v12, v13
	s_delay_alu instid0(VALU_DEP_2) | instskip(SKIP_2) | instid1(VALU_DEP_1)
	v_exp_f32_e32 v10, v10
	s_waitcnt_depctr 0xfff
	v_ldexp_f32 v10, v10, v12
	v_cndmask_b32_e64 v10, 0, v10, s2
	v_cmp_nlt_f32_e64 s2, 0x42b17218, v11
	s_delay_alu instid0(VALU_DEP_1) | instskip(SKIP_1) | instid1(VALU_DEP_2)
	v_cndmask_b32_e64 v10, 0x7f800000, v10, s2
	v_cmp_le_i64_e64 s2, s[12:13], v[6:7]
	v_add_f32_e32 v10, 1.0, v10
	s_delay_alu instid0(VALU_DEP_2) | instskip(NEXT) | instid1(VALU_DEP_1)
	s_or_b32 s22, s2, s22
	v_div_scale_f32 v11, null, v10, v10, v1
	v_div_scale_f32 v13, vcc_lo, v1, v10, v1
	s_delay_alu instid0(VALU_DEP_2) | instskip(SKIP_2) | instid1(VALU_DEP_1)
	v_rcp_f32_e32 v12, v11
	s_waitcnt_depctr 0xfff
	v_fma_f32 v14, -v11, v12, 1.0
	v_fmac_f32_e32 v12, v14, v12
	s_delay_alu instid0(VALU_DEP_1) | instskip(NEXT) | instid1(VALU_DEP_1)
	v_mul_f32_e32 v14, v13, v12
	v_fma_f32 v15, -v11, v14, v13
	s_delay_alu instid0(VALU_DEP_1) | instskip(NEXT) | instid1(VALU_DEP_1)
	v_fmac_f32_e32 v14, v15, v12
	v_fma_f32 v11, -v11, v14, v13
	s_delay_alu instid0(VALU_DEP_1) | instskip(NEXT) | instid1(VALU_DEP_1)
	v_div_fmas_f32 v11, v11, v12, v14
	v_div_fixup_f32 v1, v11, v10, v1
	global_store_b32 v[2:3], v1, off
	v_add_co_u32 v2, vcc_lo, v2, s23
	v_add_co_ci_u32_e32 v3, vcc_lo, 0, v3, vcc_lo
	s_and_not1_b32 exec_lo, exec_lo, s22
	s_cbranch_execnz .LBB56_6
.LBB56_7:
	s_or_b32 exec_lo, exec_lo, s3
	s_cbranch_execnz .LBB56_14
.LBB56_8:
	v_max_f32_e64 v5, s10, s10
	v_max_f32_e64 v6, -s10, -s10
	s_lshr_b32 s8, s12, 1
	s_mov_b32 s10, exec_lo
	v_cmpx_gt_u32_e64 s8, v0
	s_cbranch_execz .LBB56_11
; %bb.9:
	s_load_b32 s13, s[0:1], 0x2c
	v_lshlrev_b32_e32 v1, 3, v0
	s_lshl_b64 s[2:3], s[18:19], 2
	v_lshlrev_b32_e32 v2, 4, v0
	s_waitcnt lgkmcnt(0)
	s_and_b32 s13, s13, 0xffff
	s_add_u32 s2, s4, s2
	s_addc_u32 s3, s5, s3
	s_lshl_b32 s4, s13, 3
	v_add_co_u32 v1, s2, s2, v1
	s_add_u32 s5, s6, s16
	v_add_co_ci_u32_e64 v3, null, s3, 0, s2
	s_addc_u32 s2, s7, s17
	v_add_co_u32 v4, s3, s5, v2
	s_delay_alu instid0(VALU_DEP_1) | instskip(SKIP_2) | instid1(VALU_DEP_4)
	v_add_co_ci_u32_e64 v7, null, s2, 0, s3
	v_add_co_u32 v1, vcc_lo, v1, 4
	v_add_co_ci_u32_e32 v2, vcc_lo, 0, v3, vcc_lo
	v_add_co_u32 v3, vcc_lo, v4, 8
	s_delay_alu instid0(VALU_DEP_4)
	v_add_co_ci_u32_e32 v4, vcc_lo, 0, v7, vcc_lo
	v_mov_b32_e32 v7, v0
	s_mov_b32 s5, 0
	s_lshl_b32 s6, s13, 4
.LBB56_10:                              ; =>This Inner Loop Header: Depth=1
	global_load_b128 v[8:11], v[3:4], off offset:-8
	v_add_nc_u32_e32 v7, s13, v7
	v_add_co_u32 v3, vcc_lo, v3, s6
	v_add_co_ci_u32_e32 v4, vcc_lo, 0, v4, vcc_lo
	s_waitcnt vmcnt(0)
	v_max_f32_e32 v8, v8, v8
	v_dual_max_f32 v10, v10, v10 :: v_dual_max_f32 v9, v9, v9
	v_max_f32_e32 v11, v11, v11
	v_cmp_le_u32_e64 s2, s8, v7
	s_delay_alu instid0(VALU_DEP_4) | instskip(NEXT) | instid1(VALU_DEP_4)
	v_min_f32_e32 v8, v8, v5
	v_minmax_f32 v9, v9, v5, v6
	s_delay_alu instid0(VALU_DEP_4) | instskip(SKIP_1) | instid1(VALU_DEP_4)
	v_minmax_f32 v11, v11, v5, v6
	v_min_f32_e32 v10, v10, v5
	v_mul_f32_e64 v12, -v8, s9
	s_or_b32 s5, s2, s5
	v_add_f32_e32 v9, 1.0, v9
	v_add_f32_e32 v11, 1.0, v11
	v_mul_f32_e64 v13, -v10, s9
	v_mul_f32_e32 v14, 0x3fb8aa3b, v12
	v_cmp_ngt_f32_e64 s3, 0xc2ce8ed0, v12
	s_delay_alu instid0(VALU_DEP_4) | instskip(NEXT) | instid1(VALU_DEP_4)
	v_dual_mul_f32 v8, v8, v9 :: v_dual_mul_f32 v9, v10, v11
	v_cmp_ngt_f32_e32 vcc_lo, 0xc2ce8ed0, v13
	s_delay_alu instid0(VALU_DEP_4) | instskip(SKIP_2) | instid1(VALU_DEP_3)
	v_rndne_f32_e32 v11, v14
	v_mul_f32_e32 v15, 0x3fb8aa3b, v13
	v_fma_f32 v10, 0x3fb8aa3b, v12, -v14
	v_sub_f32_e32 v14, v14, v11
	s_delay_alu instid0(VALU_DEP_3) | instskip(SKIP_1) | instid1(VALU_DEP_4)
	v_fma_f32 v16, 0x3fb8aa3b, v13, -v15
	v_rndne_f32_e32 v17, v15
	v_fmac_f32_e32 v10, 0x32a5705f, v12
	v_cvt_i32_f32_e32 v11, v11
	s_delay_alu instid0(VALU_DEP_4) | instskip(NEXT) | instid1(VALU_DEP_3)
	v_fmac_f32_e32 v16, 0x32a5705f, v13
	v_dual_sub_f32 v15, v15, v17 :: v_dual_add_f32 v10, v14, v10
	s_delay_alu instid0(VALU_DEP_1) | instskip(NEXT) | instid1(VALU_DEP_2)
	v_add_f32_e32 v14, v15, v16
	v_exp_f32_e32 v10, v10
	v_cvt_i32_f32_e32 v15, v17
	s_delay_alu instid0(VALU_DEP_2) | instskip(SKIP_3) | instid1(VALU_DEP_2)
	v_exp_f32_e32 v14, v14
	s_waitcnt_depctr 0xfff
	v_ldexp_f32 v10, v10, v11
	v_ldexp_f32 v11, v14, v15
	v_cndmask_b32_e64 v10, 0, v10, s3
	v_cmp_nlt_f32_e64 s3, 0x42b17218, v12
	s_delay_alu instid0(VALU_DEP_3) | instskip(SKIP_1) | instid1(VALU_DEP_3)
	v_cndmask_b32_e32 v11, 0, v11, vcc_lo
	v_cmp_nlt_f32_e32 vcc_lo, 0x42b17218, v13
	v_cndmask_b32_e64 v10, 0x7f800000, v10, s3
	s_delay_alu instid0(VALU_DEP_1) | instskip(NEXT) | instid1(VALU_DEP_1)
	v_dual_cndmask_b32 v11, 0x7f800000, v11 :: v_dual_add_f32 v10, 1.0, v10
	v_add_f32_e32 v11, 1.0, v11
	s_delay_alu instid0(VALU_DEP_2) | instskip(NEXT) | instid1(VALU_DEP_2)
	v_div_scale_f32 v12, null, v10, v10, v8
	v_div_scale_f32 v13, null, v11, v11, v9
	s_delay_alu instid0(VALU_DEP_2) | instskip(SKIP_1) | instid1(VALU_DEP_2)
	v_rcp_f32_e32 v15, v12
	v_div_scale_f32 v17, s3, v9, v11, v9
	v_rcp_f32_e32 v16, v13
	s_waitcnt_depctr 0xfff
	v_fma_f32 v18, -v12, v15, 1.0
	v_fma_f32 v19, -v13, v16, 1.0
	s_delay_alu instid0(VALU_DEP_2) | instskip(SKIP_1) | instid1(VALU_DEP_3)
	v_fmac_f32_e32 v15, v18, v15
	v_div_scale_f32 v14, vcc_lo, v8, v10, v8
	v_fmac_f32_e32 v16, v19, v16
	s_delay_alu instid0(VALU_DEP_1) | instskip(NEXT) | instid1(VALU_DEP_1)
	v_dual_mul_f32 v18, v14, v15 :: v_dual_mul_f32 v19, v17, v16
	v_fma_f32 v20, -v12, v18, v14
	s_delay_alu instid0(VALU_DEP_2) | instskip(NEXT) | instid1(VALU_DEP_1)
	v_fma_f32 v21, -v13, v19, v17
	v_dual_fmac_f32 v18, v20, v15 :: v_dual_fmac_f32 v19, v21, v16
	s_delay_alu instid0(VALU_DEP_1) | instskip(NEXT) | instid1(VALU_DEP_2)
	v_fma_f32 v12, -v12, v18, v14
	v_fma_f32 v13, -v13, v19, v17
	s_delay_alu instid0(VALU_DEP_2) | instskip(SKIP_1) | instid1(VALU_DEP_2)
	v_div_fmas_f32 v12, v12, v15, v18
	s_mov_b32 vcc_lo, s3
	v_div_fmas_f32 v13, v13, v16, v19
	s_delay_alu instid0(VALU_DEP_2) | instskip(NEXT) | instid1(VALU_DEP_2)
	v_div_fixup_f32 v8, v12, v10, v8
	v_div_fixup_f32 v9, v13, v11, v9
	global_store_b64 v[1:2], v[8:9], off offset:-4
	v_add_co_u32 v1, vcc_lo, v1, s4
	v_add_co_ci_u32_e32 v2, vcc_lo, 0, v2, vcc_lo
	s_and_not1_b32 exec_lo, exec_lo, s5
	s_cbranch_execnz .LBB56_10
.LBB56_11:
	s_or_b32 exec_lo, exec_lo, s10
	s_and_b32 s2, s12, 0x7ffffffe
	s_delay_alu instid0(SALU_CYCLE_1) | instskip(SKIP_1) | instid1(VALU_DEP_1)
	v_add_nc_u32_e32 v1, s2, v0
	s_mov_b32 s2, exec_lo
	v_cmpx_gt_i32_e64 s12, v1
	s_cbranch_execz .LBB56_14
; %bb.12:
	s_load_b32 s0, s[0:1], 0x2c
	s_lshl_b32 s1, s12, 1
	s_mov_b32 s3, 0
	s_and_b32 s1, s1, -4
	s_delay_alu instid0(SALU_CYCLE_1) | instskip(SKIP_2) | instid1(SALU_CYCLE_1)
	v_lshl_add_u32 v3, v0, 1, s1
	s_waitcnt lgkmcnt(0)
	s_and_b32 s1, s0, 0xffff
	s_lshl_b32 s2, s1, 1
.LBB56_13:                              ; =>This Inner Loop Header: Depth=1
	s_delay_alu instid0(VALU_DEP_1) | instskip(NEXT) | instid1(VALU_DEP_1)
	v_ashrrev_i32_e32 v4, 31, v3
	v_lshlrev_b64 v[7:8], 2, v[3:4]
	v_add_nc_u32_e32 v3, s2, v3
	s_delay_alu instid0(VALU_DEP_2) | instskip(NEXT) | instid1(VALU_DEP_3)
	v_add_co_u32 v7, vcc_lo, s11, v7
	v_add_co_ci_u32_e32 v8, vcc_lo, s20, v8, vcc_lo
	global_load_b64 v[7:8], v[7:8], off
	s_waitcnt vmcnt(0)
	v_max_f32_e32 v0, v7, v7
	v_max_f32_e32 v8, v8, v8
	s_delay_alu instid0(VALU_DEP_2) | instskip(NEXT) | instid1(VALU_DEP_1)
	v_min_f32_e32 v0, v0, v5
	v_mul_f32_e64 v2, -v0, s9
	s_delay_alu instid0(VALU_DEP_1) | instskip(SKIP_1) | instid1(VALU_DEP_2)
	v_mul_f32_e32 v4, 0x3fb8aa3b, v2
	v_cmp_ngt_f32_e32 vcc_lo, 0xc2ce8ed0, v2
	v_fma_f32 v7, 0x3fb8aa3b, v2, -v4
	v_rndne_f32_e32 v9, v4
	s_delay_alu instid0(VALU_DEP_1) | instskip(NEXT) | instid1(VALU_DEP_1)
	v_dual_fmac_f32 v7, 0x32a5705f, v2 :: v_dual_sub_f32 v4, v4, v9
	v_add_f32_e32 v4, v4, v7
	v_cvt_i32_f32_e32 v7, v9
	s_delay_alu instid0(VALU_DEP_2) | instskip(SKIP_3) | instid1(VALU_DEP_2)
	v_exp_f32_e32 v4, v4
	s_waitcnt_depctr 0xfff
	v_ldexp_f32 v4, v4, v7
	v_minmax_f32 v7, v8, v5, v6
	v_cndmask_b32_e32 v4, 0, v4, vcc_lo
	v_cmp_nlt_f32_e32 vcc_lo, 0x42b17218, v2
	s_delay_alu instid0(VALU_DEP_2) | instskip(NEXT) | instid1(VALU_DEP_1)
	v_dual_add_f32 v7, 1.0, v7 :: v_dual_cndmask_b32 v2, 0x7f800000, v4
	v_mul_f32_e32 v0, v0, v7
	s_delay_alu instid0(VALU_DEP_2) | instskip(NEXT) | instid1(VALU_DEP_1)
	v_add_f32_e32 v4, 1.0, v2
	v_div_scale_f32 v7, null, v4, v4, v0
	v_div_scale_f32 v8, vcc_lo, v0, v4, v0
	s_delay_alu instid0(VALU_DEP_2) | instskip(SKIP_2) | instid1(VALU_DEP_1)
	v_rcp_f32_e32 v9, v7
	s_waitcnt_depctr 0xfff
	v_fma_f32 v2, -v7, v9, 1.0
	v_fmac_f32_e32 v9, v2, v9
	s_delay_alu instid0(VALU_DEP_1) | instskip(NEXT) | instid1(VALU_DEP_1)
	v_mul_f32_e32 v10, v8, v9
	v_fma_f32 v2, -v7, v10, v8
	s_delay_alu instid0(VALU_DEP_1) | instskip(SKIP_1) | instid1(VALU_DEP_2)
	v_fmac_f32_e32 v10, v2, v9
	v_ashrrev_i32_e32 v2, 31, v1
	v_fma_f32 v11, -v7, v10, v8
	s_delay_alu instid0(VALU_DEP_2) | instskip(SKIP_1) | instid1(VALU_DEP_3)
	v_lshlrev_b64 v[7:8], 2, v[1:2]
	v_add_nc_u32_e32 v1, s1, v1
	v_div_fmas_f32 v2, v11, v9, v10
	s_delay_alu instid0(VALU_DEP_2) | instskip(NEXT) | instid1(VALU_DEP_4)
	v_cmp_le_i32_e32 vcc_lo, s12, v1
	v_add_co_u32 v7, s0, s14, v7
	s_delay_alu instid0(VALU_DEP_3)
	v_div_fixup_f32 v0, v2, v4, v0
	v_add_co_ci_u32_e64 v8, s0, s15, v8, s0
	s_or_b32 s3, vcc_lo, s3
	global_store_b32 v[7:8], v0, off
	s_and_not1_b32 exec_lo, exec_lo, s3
	s_cbranch_execnz .LBB56_13
.LBB56_14:
	s_nop 0
	s_sendmsg sendmsg(MSG_DEALLOC_VGPRS)
	s_endpgm
	.section	.rodata,"a",@progbits
	.p2align	6, 0x0
	.amdhsa_kernel _ZN4vllm24swigluoai_and_mul_kernelIfTnPFT_RKS1_S3_ffEXadL_ZNS_17swigluoai_and_mulIfEES1_S3_S3_ffEEEEvPS1_PS2_iff
		.amdhsa_group_segment_fixed_size 0
		.amdhsa_private_segment_fixed_size 0
		.amdhsa_kernarg_size 288
		.amdhsa_user_sgpr_count 15
		.amdhsa_user_sgpr_dispatch_ptr 0
		.amdhsa_user_sgpr_queue_ptr 0
		.amdhsa_user_sgpr_kernarg_segment_ptr 1
		.amdhsa_user_sgpr_dispatch_id 0
		.amdhsa_user_sgpr_private_segment_size 0
		.amdhsa_wavefront_size32 1
		.amdhsa_uses_dynamic_stack 0
		.amdhsa_enable_private_segment 0
		.amdhsa_system_sgpr_workgroup_id_x 1
		.amdhsa_system_sgpr_workgroup_id_y 0
		.amdhsa_system_sgpr_workgroup_id_z 0
		.amdhsa_system_sgpr_workgroup_info 0
		.amdhsa_system_vgpr_workitem_id 0
		.amdhsa_next_free_vgpr 22
		.amdhsa_next_free_sgpr 25
		.amdhsa_reserve_vcc 1
		.amdhsa_float_round_mode_32 0
		.amdhsa_float_round_mode_16_64 0
		.amdhsa_float_denorm_mode_32 3
		.amdhsa_float_denorm_mode_16_64 3
		.amdhsa_dx10_clamp 1
		.amdhsa_ieee_mode 1
		.amdhsa_fp16_overflow 0
		.amdhsa_workgroup_processor_mode 1
		.amdhsa_memory_ordered 1
		.amdhsa_forward_progress 0
		.amdhsa_shared_vgpr_count 0
		.amdhsa_exception_fp_ieee_invalid_op 0
		.amdhsa_exception_fp_denorm_src 0
		.amdhsa_exception_fp_ieee_div_zero 0
		.amdhsa_exception_fp_ieee_overflow 0
		.amdhsa_exception_fp_ieee_underflow 0
		.amdhsa_exception_fp_ieee_inexact 0
		.amdhsa_exception_int_div_zero 0
	.end_amdhsa_kernel
	.section	.text._ZN4vllm24swigluoai_and_mul_kernelIfTnPFT_RKS1_S3_ffEXadL_ZNS_17swigluoai_and_mulIfEES1_S3_S3_ffEEEEvPS1_PS2_iff,"axG",@progbits,_ZN4vllm24swigluoai_and_mul_kernelIfTnPFT_RKS1_S3_ffEXadL_ZNS_17swigluoai_and_mulIfEES1_S3_S3_ffEEEEvPS1_PS2_iff,comdat
.Lfunc_end56:
	.size	_ZN4vllm24swigluoai_and_mul_kernelIfTnPFT_RKS1_S3_ffEXadL_ZNS_17swigluoai_and_mulIfEES1_S3_S3_ffEEEEvPS1_PS2_iff, .Lfunc_end56-_ZN4vllm24swigluoai_and_mul_kernelIfTnPFT_RKS1_S3_ffEXadL_ZNS_17swigluoai_and_mulIfEES1_S3_S3_ffEEEEvPS1_PS2_iff
                                        ; -- End function
	.section	.AMDGPU.csdata,"",@progbits
; Kernel info:
; codeLenInByte = 1828
; NumSgprs: 27
; NumVgprs: 22
; ScratchSize: 0
; MemoryBound: 0
; FloatMode: 240
; IeeeMode: 1
; LDSByteSize: 0 bytes/workgroup (compile time only)
; SGPRBlocks: 3
; VGPRBlocks: 2
; NumSGPRsForWavesPerEU: 27
; NumVGPRsForWavesPerEU: 22
; Occupancy: 16
; WaveLimiterHint : 0
; COMPUTE_PGM_RSRC2:SCRATCH_EN: 0
; COMPUTE_PGM_RSRC2:USER_SGPR: 15
; COMPUTE_PGM_RSRC2:TRAP_HANDLER: 0
; COMPUTE_PGM_RSRC2:TGID_X_EN: 1
; COMPUTE_PGM_RSRC2:TGID_Y_EN: 0
; COMPUTE_PGM_RSRC2:TGID_Z_EN: 0
; COMPUTE_PGM_RSRC2:TIDIG_COMP_CNT: 0
	.section	.text._ZN4vllm24swigluoai_and_mul_kernelIN3c104HalfETnPFT_RKS3_S5_ffEXadL_ZNS_17swigluoai_and_mulIS2_EES3_S5_S5_ffEEEEvPS3_PS4_iff,"axG",@progbits,_ZN4vllm24swigluoai_and_mul_kernelIN3c104HalfETnPFT_RKS3_S5_ffEXadL_ZNS_17swigluoai_and_mulIS2_EES3_S5_S5_ffEEEEvPS3_PS4_iff,comdat
	.protected	_ZN4vllm24swigluoai_and_mul_kernelIN3c104HalfETnPFT_RKS3_S5_ffEXadL_ZNS_17swigluoai_and_mulIS2_EES3_S5_S5_ffEEEEvPS3_PS4_iff ; -- Begin function _ZN4vllm24swigluoai_and_mul_kernelIN3c104HalfETnPFT_RKS3_S5_ffEXadL_ZNS_17swigluoai_and_mulIS2_EES3_S5_S5_ffEEEEvPS3_PS4_iff
	.globl	_ZN4vllm24swigluoai_and_mul_kernelIN3c104HalfETnPFT_RKS3_S5_ffEXadL_ZNS_17swigluoai_and_mulIS2_EES3_S5_S5_ffEEEEvPS3_PS4_iff
	.p2align	8
	.type	_ZN4vllm24swigluoai_and_mul_kernelIN3c104HalfETnPFT_RKS3_S5_ffEXadL_ZNS_17swigluoai_and_mulIS2_EES3_S5_S5_ffEEEEvPS3_PS4_iff,@function
_ZN4vllm24swigluoai_and_mul_kernelIN3c104HalfETnPFT_RKS3_S5_ffEXadL_ZNS_17swigluoai_and_mulIS2_EES3_S5_S5_ffEEEEvPS3_PS4_iff: ; @_ZN4vllm24swigluoai_and_mul_kernelIN3c104HalfETnPFT_RKS3_S5_ffEXadL_ZNS_17swigluoai_and_mulIS2_EES3_S5_S5_ffEEEEvPS3_PS4_iff
; %bb.0:
	s_load_b256 s[4:11], s[0:1], 0x0
	s_waitcnt lgkmcnt(0)
	s_ashr_i32 s13, s8, 31
	s_mul_hi_u32 s3, s8, s15
	s_mul_i32 s11, s13, s15
	s_mul_i32 s2, s8, s15
	s_add_i32 s3, s3, s11
	s_mov_b32 s12, s8
	s_lshl_b64 s[14:15], s[2:3], 2
	s_lshl_b64 s[16:17], s[2:3], 1
	s_add_u32 s11, s6, s14
	s_addc_u32 s20, s7, s15
	s_add_u32 s21, s4, s16
	s_addc_u32 s22, s5, s17
	s_and_b32 s2, s11, 15
	s_mov_b32 s3, 0
	s_delay_alu instid0(SALU_CYCLE_1) | instskip(SKIP_1) | instid1(SALU_CYCLE_1)
	s_cmp_lg_u64 s[2:3], 0
	s_cselect_b32 s2, -1, 0
	s_and_b32 vcc_lo, exec_lo, s2
	s_cbranch_vccz .LBB57_3
; %bb.1:
	s_and_not1_b32 vcc_lo, exec_lo, s2
	s_cbranch_vccz .LBB57_4
.LBB57_2:
	s_and_not1_b32 vcc_lo, exec_lo, s3
	s_cbranch_vccz .LBB57_19
	s_branch .LBB57_25
.LBB57_3:
	s_and_b32 s2, s21, 7
	s_delay_alu instid0(SALU_CYCLE_1) | instskip(SKIP_3) | instid1(SALU_CYCLE_1)
	s_cmp_lg_u64 s[2:3], 0
	s_cselect_b32 s2, -1, 0
	s_cmp_lt_i32 s12, 4
	s_cselect_b32 s3, -1, 0
	s_or_b32 s2, s3, s2
	s_mov_b32 s3, -1
	s_and_not1_b32 vcc_lo, exec_lo, s2
	s_cbranch_vccnz .LBB57_2
.LBB57_4:
	s_mov_b32 s8, exec_lo
	v_cmpx_gt_i32_e64 s12, v0
	s_cbranch_execz .LBB57_18
; %bb.5:
	s_load_b32 s2, s[0:1], 0x2c
	s_waitcnt lgkmcnt(0)
	s_and_b32 s23, s2, 0xffff
	s_delay_alu instid0(SALU_CYCLE_1) | instskip(NEXT) | instid1(VALU_DEP_1)
	v_add_co_u32 v1, s2, v0, s23
	v_add_co_ci_u32_e64 v2, null, 0, 0, s2
	s_delay_alu instid0(VALU_DEP_1) | instskip(SKIP_1) | instid1(VALU_DEP_2)
	v_cmp_gt_i64_e64 s2, s[12:13], v[1:2]
	v_cmp_lt_i64_e32 vcc_lo, s[12:13], v[1:2]
	v_cndmask_b32_e64 v6, 0, 1, s2
	v_cndmask_b32_e32 v3, s13, v2, vcc_lo
	v_cndmask_b32_e32 v4, s12, v1, vcc_lo
	s_mov_b32 s2, exec_lo
	s_delay_alu instid0(VALU_DEP_3) | instskip(SKIP_2) | instid1(VALU_DEP_3)
	v_add_co_u32 v5, vcc_lo, v1, v6
	v_mov_b32_e32 v1, 0
	v_add_co_ci_u32_e32 v2, vcc_lo, 0, v2, vcc_lo
	v_sub_co_u32 v7, vcc_lo, v4, v5
                                        ; implicit-def: $vgpr4_vgpr5
	s_delay_alu instid0(VALU_DEP_2) | instskip(NEXT) | instid1(VALU_DEP_4)
	v_sub_co_ci_u32_e32 v3, vcc_lo, v3, v2, vcc_lo
	v_mov_b32_e32 v2, v1
	s_delay_alu instid0(VALU_DEP_1)
	v_cmpx_ne_u64_e32 0, v[2:3]
	s_xor_b32 s3, exec_lo, s2
	s_cbranch_execz .LBB57_7
; %bb.6:
	v_cvt_f32_u32_e32 v2, s23
	s_sub_u32 s2, 0, s23
	s_subb_u32 s18, 0, 0
	s_delay_alu instid0(VALU_DEP_1) | instskip(NEXT) | instid1(VALU_DEP_1)
	v_fmamk_f32 v2, 0, 0x4f800000, v2
	v_rcp_f32_e32 v2, v2
	s_waitcnt_depctr 0xfff
	v_mul_f32_e32 v2, 0x5f7ffffc, v2
	s_delay_alu instid0(VALU_DEP_1) | instskip(NEXT) | instid1(VALU_DEP_1)
	v_mul_f32_e32 v4, 0x2f800000, v2
	v_trunc_f32_e32 v4, v4
	s_delay_alu instid0(VALU_DEP_1) | instskip(SKIP_1) | instid1(VALU_DEP_2)
	v_fmamk_f32 v2, v4, 0xcf800000, v2
	v_cvt_u32_f32_e32 v4, v4
	v_cvt_u32_f32_e32 v2, v2
	s_delay_alu instid0(VALU_DEP_2) | instskip(NEXT) | instid1(VALU_DEP_2)
	v_mul_lo_u32 v5, s2, v4
	v_mul_hi_u32 v8, s2, v2
	v_mul_lo_u32 v9, s18, v2
	s_delay_alu instid0(VALU_DEP_2) | instskip(SKIP_1) | instid1(VALU_DEP_2)
	v_add_nc_u32_e32 v5, v8, v5
	v_mul_lo_u32 v8, s2, v2
	v_add_nc_u32_e32 v5, v5, v9
	s_delay_alu instid0(VALU_DEP_2) | instskip(NEXT) | instid1(VALU_DEP_2)
	v_mul_hi_u32 v9, v2, v8
	v_mul_lo_u32 v10, v2, v5
	v_mul_hi_u32 v11, v2, v5
	v_mul_hi_u32 v12, v4, v8
	v_mul_lo_u32 v8, v4, v8
	v_mul_hi_u32 v13, v4, v5
	v_mul_lo_u32 v5, v4, v5
	v_add_co_u32 v9, vcc_lo, v9, v10
	v_add_co_ci_u32_e32 v10, vcc_lo, 0, v11, vcc_lo
	s_delay_alu instid0(VALU_DEP_2) | instskip(NEXT) | instid1(VALU_DEP_2)
	v_add_co_u32 v8, vcc_lo, v9, v8
	v_add_co_ci_u32_e32 v8, vcc_lo, v10, v12, vcc_lo
	v_add_co_ci_u32_e32 v9, vcc_lo, 0, v13, vcc_lo
	s_delay_alu instid0(VALU_DEP_2) | instskip(NEXT) | instid1(VALU_DEP_2)
	v_add_co_u32 v5, vcc_lo, v8, v5
	v_add_co_ci_u32_e32 v8, vcc_lo, 0, v9, vcc_lo
	s_delay_alu instid0(VALU_DEP_2) | instskip(NEXT) | instid1(VALU_DEP_2)
	v_add_co_u32 v2, vcc_lo, v2, v5
	v_add_co_ci_u32_e32 v4, vcc_lo, v4, v8, vcc_lo
	s_delay_alu instid0(VALU_DEP_2) | instskip(SKIP_1) | instid1(VALU_DEP_3)
	v_mul_hi_u32 v5, s2, v2
	v_mul_lo_u32 v9, s18, v2
	v_mul_lo_u32 v8, s2, v4
	s_delay_alu instid0(VALU_DEP_1) | instskip(SKIP_1) | instid1(VALU_DEP_2)
	v_add_nc_u32_e32 v5, v5, v8
	v_mul_lo_u32 v8, s2, v2
	v_add_nc_u32_e32 v5, v5, v9
	s_delay_alu instid0(VALU_DEP_2) | instskip(NEXT) | instid1(VALU_DEP_2)
	v_mul_hi_u32 v9, v2, v8
	v_mul_lo_u32 v10, v2, v5
	v_mul_hi_u32 v11, v2, v5
	v_mul_hi_u32 v12, v4, v8
	v_mul_lo_u32 v8, v4, v8
	v_mul_hi_u32 v13, v4, v5
	v_mul_lo_u32 v5, v4, v5
	v_add_co_u32 v9, vcc_lo, v9, v10
	v_add_co_ci_u32_e32 v10, vcc_lo, 0, v11, vcc_lo
	s_delay_alu instid0(VALU_DEP_2) | instskip(NEXT) | instid1(VALU_DEP_2)
	v_add_co_u32 v8, vcc_lo, v9, v8
	v_add_co_ci_u32_e32 v8, vcc_lo, v10, v12, vcc_lo
	v_add_co_ci_u32_e32 v9, vcc_lo, 0, v13, vcc_lo
	s_delay_alu instid0(VALU_DEP_2) | instskip(NEXT) | instid1(VALU_DEP_2)
	v_add_co_u32 v5, vcc_lo, v8, v5
	v_add_co_ci_u32_e32 v8, vcc_lo, 0, v9, vcc_lo
	s_delay_alu instid0(VALU_DEP_2) | instskip(NEXT) | instid1(VALU_DEP_2)
	v_add_co_u32 v2, vcc_lo, v2, v5
	v_add_co_ci_u32_e32 v12, vcc_lo, v4, v8, vcc_lo
	s_delay_alu instid0(VALU_DEP_2) | instskip(SKIP_1) | instid1(VALU_DEP_3)
	v_mul_hi_u32 v13, v7, v2
	v_mad_u64_u32 v[8:9], null, v3, v2, 0
	v_mad_u64_u32 v[4:5], null, v7, v12, 0
	;; [unrolled: 1-line block ×3, first 2 shown]
	s_delay_alu instid0(VALU_DEP_2) | instskip(NEXT) | instid1(VALU_DEP_3)
	v_add_co_u32 v2, vcc_lo, v13, v4
	v_add_co_ci_u32_e32 v4, vcc_lo, 0, v5, vcc_lo
	s_delay_alu instid0(VALU_DEP_2) | instskip(NEXT) | instid1(VALU_DEP_2)
	v_add_co_u32 v2, vcc_lo, v2, v8
	v_add_co_ci_u32_e32 v2, vcc_lo, v4, v9, vcc_lo
	v_add_co_ci_u32_e32 v4, vcc_lo, 0, v11, vcc_lo
	s_delay_alu instid0(VALU_DEP_2) | instskip(NEXT) | instid1(VALU_DEP_2)
	v_add_co_u32 v10, vcc_lo, v2, v10
	v_add_co_ci_u32_e32 v11, vcc_lo, 0, v4, vcc_lo
	s_delay_alu instid0(VALU_DEP_2) | instskip(NEXT) | instid1(VALU_DEP_1)
	v_mad_u64_u32 v[4:5], null, s23, v10, 0
	v_mov_b32_e32 v2, v5
	s_delay_alu instid0(VALU_DEP_1) | instskip(NEXT) | instid1(VALU_DEP_3)
	v_mad_u64_u32 v[8:9], null, s23, v11, v[2:3]
	v_sub_co_u32 v2, vcc_lo, v7, v4
	s_delay_alu instid0(VALU_DEP_2) | instskip(NEXT) | instid1(VALU_DEP_2)
	v_sub_co_ci_u32_e32 v3, vcc_lo, v3, v8, vcc_lo
	v_sub_co_u32 v4, vcc_lo, v2, s23
	s_delay_alu instid0(VALU_DEP_2) | instskip(NEXT) | instid1(VALU_DEP_2)
	v_subrev_co_ci_u32_e32 v5, vcc_lo, 0, v3, vcc_lo
	v_cmp_le_u32_e32 vcc_lo, s23, v4
	v_cmp_eq_u32_e64 s2, 0, v3
	v_cndmask_b32_e64 v4, 0, -1, vcc_lo
	v_add_co_u32 v7, vcc_lo, v10, 2
	v_add_co_ci_u32_e32 v8, vcc_lo, 0, v11, vcc_lo
	v_cmp_le_u32_e32 vcc_lo, s23, v2
	v_cndmask_b32_e64 v2, 0, -1, vcc_lo
	v_cmp_eq_u32_e32 vcc_lo, 0, v5
	s_delay_alu instid0(VALU_DEP_2) | instskip(SKIP_3) | instid1(VALU_DEP_3)
	v_cndmask_b32_e64 v2, -1, v2, s2
	v_cndmask_b32_e32 v4, -1, v4, vcc_lo
	v_add_co_u32 v5, vcc_lo, v10, 1
	v_add_co_ci_u32_e32 v9, vcc_lo, 0, v11, vcc_lo
	v_cmp_ne_u32_e32 vcc_lo, 0, v4
	s_delay_alu instid0(VALU_DEP_2) | instskip(NEXT) | instid1(VALU_DEP_4)
	v_cndmask_b32_e32 v3, v9, v8, vcc_lo
	v_cndmask_b32_e32 v4, v5, v7, vcc_lo
	v_cmp_ne_u32_e32 vcc_lo, 0, v2
                                        ; kill: def $vgpr2 killed $sgpr0 killed $exec
                                        ; implicit-def: $vgpr7
	s_delay_alu instid0(VALU_DEP_2)
	v_dual_cndmask_b32 v5, v11, v3 :: v_dual_cndmask_b32 v4, v10, v4
.LBB57_7:
	s_and_not1_saveexec_b32 s2, s3
	s_cbranch_execz .LBB57_9
; %bb.8:
	v_cvt_f32_u32_e32 v2, s23
	s_sub_i32 s3, 0, s23
	s_delay_alu instid0(VALU_DEP_1) | instskip(SKIP_2) | instid1(VALU_DEP_1)
	v_rcp_iflag_f32_e32 v2, v2
	s_waitcnt_depctr 0xfff
	v_mul_f32_e32 v2, 0x4f7ffffe, v2
	v_cvt_u32_f32_e32 v2, v2
	s_delay_alu instid0(VALU_DEP_1) | instskip(NEXT) | instid1(VALU_DEP_1)
	v_mul_lo_u32 v3, s3, v2
	v_mul_hi_u32 v3, v2, v3
	s_delay_alu instid0(VALU_DEP_1) | instskip(NEXT) | instid1(VALU_DEP_1)
	v_add_nc_u32_e32 v2, v2, v3
	v_mul_hi_u32 v2, v7, v2
	s_delay_alu instid0(VALU_DEP_1) | instskip(SKIP_1) | instid1(VALU_DEP_2)
	v_mul_lo_u32 v3, v2, s23
	v_add_nc_u32_e32 v4, 1, v2
	v_sub_nc_u32_e32 v3, v7, v3
	s_delay_alu instid0(VALU_DEP_1) | instskip(SKIP_1) | instid1(VALU_DEP_2)
	v_subrev_nc_u32_e32 v5, s23, v3
	v_cmp_le_u32_e32 vcc_lo, s23, v3
	v_cndmask_b32_e32 v3, v3, v5, vcc_lo
	v_dual_mov_b32 v5, 0 :: v_dual_cndmask_b32 v2, v2, v4
	s_delay_alu instid0(VALU_DEP_2) | instskip(NEXT) | instid1(VALU_DEP_2)
	v_cmp_le_u32_e32 vcc_lo, s23, v3
	v_add_nc_u32_e32 v4, 1, v2
	s_delay_alu instid0(VALU_DEP_1)
	v_cndmask_b32_e32 v4, v2, v4, vcc_lo
.LBB57_9:
	s_or_b32 exec_lo, exec_lo, s2
	s_delay_alu instid0(VALU_DEP_1) | instskip(SKIP_2) | instid1(VALU_DEP_3)
	v_add_co_u32 v2, vcc_lo, v4, v6
	v_add_co_ci_u32_e32 v3, vcc_lo, 0, v5, vcc_lo
	v_cmp_ne_u16_e64 s2, s23, 1
	v_add_co_u32 v6, vcc_lo, v2, 1
	s_delay_alu instid0(VALU_DEP_3) | instskip(SKIP_1) | instid1(VALU_DEP_1)
	v_add_co_ci_u32_e32 v7, vcc_lo, 0, v3, vcc_lo
	s_mov_b32 s24, 0
                                        ; kill: def $vgpr2_vgpr3 killed $sgpr0_sgpr1 killed $exec
	v_cmp_gt_u64_e32 vcc_lo, 2, v[6:7]
	v_mov_b32_e32 v9, v7
	s_or_b32 s18, vcc_lo, s2
                                        ; implicit-def: $sgpr2_sgpr3
	s_delay_alu instid0(SALU_CYCLE_1) | instskip(NEXT) | instid1(SALU_CYCLE_1)
	s_and_saveexec_b32 s19, s18
	s_xor_b32 s18, exec_lo, s19
; %bb.10:
	s_mov_b32 s24, exec_lo
	s_lshl_b32 s2, s23, 2
	s_mov_b32 s3, 0
                                        ; implicit-def: $vgpr6_vgpr7
                                        ; implicit-def: $vgpr9
; %bb.11:
	s_or_saveexec_b32 s25, s18
	v_dual_mov_b32 v5, s3 :: v_dual_mov_b32 v4, s2
	v_dual_mov_b32 v3, v1 :: v_dual_mov_b32 v2, v0
	s_xor_b32 exec_lo, exec_lo, s25
	s_cbranch_execz .LBB57_15
; %bb.12:
	v_add_co_u32 v2, s2, v0, s23
	s_delay_alu instid0(VALU_DEP_1)
	v_add_co_ci_u32_e64 v3, null, 0, 0, s2
	v_and_b32_e32 v8, -2, v6
	v_lshlrev_b32_e32 v4, 1, v0
	s_xor_b32 s2, s10, 0x80000000
	s_mov_b32 s3, s10
	s_mov_b32 s18, s2
	v_max_f32_e64 v14, s10, s10
	v_add_co_u32 v10, s19, s21, v4
	v_mov_b32_e32 v5, v3
	v_mov_b32_e32 v13, v9
	v_add_co_ci_u32_e64 v11, null, s22, 0, s19
	v_max_f32_e64 v15, s3, s3
	v_max_f32_e64 v16, s18, s18
	;; [unrolled: 1-line block ×3, first 2 shown]
	v_mov_b32_e32 v12, v8
	v_dual_mov_b32 v4, v2 :: v_dual_mov_b32 v3, v1
	v_mov_b32_e32 v2, v0
	s_mov_b32 s19, 0
	s_mov_b32 s26, s9
	s_lshl_b32 s18, s23, 2
	s_mov_b32 s27, s19
.LBB57_13:                              ; =>This Inner Loop Header: Depth=1
	v_lshlrev_b64 v[18:19], 2, v[2:3]
	v_lshlrev_b64 v[20:21], 1, v[2:3]
	;; [unrolled: 1-line block ×4, first 2 shown]
	s_delay_alu instid0(VALU_DEP_4) | instskip(NEXT) | instid1(VALU_DEP_4)
	v_add_co_u32 v18, vcc_lo, s11, v18
	v_or_b32_e32 v20, 1, v20
	v_add_co_ci_u32_e32 v19, vcc_lo, s20, v19, vcc_lo
	v_add_co_u32 v24, vcc_lo, s11, v24
	v_or_b32_e32 v22, 1, v22
	v_add_co_ci_u32_e32 v25, vcc_lo, s20, v25, vcc_lo
	v_lshlrev_b64 v[20:21], 1, v[20:21]
	s_clause 0x1
	global_load_u16 v26, v[18:19], off
	global_load_u16 v24, v[24:25], off
	v_lshlrev_b64 v[18:19], 1, v[22:23]
	v_add_co_u32 v20, vcc_lo, s11, v20
	v_add_co_ci_u32_e32 v21, vcc_lo, s20, v21, vcc_lo
	s_delay_alu instid0(VALU_DEP_3) | instskip(NEXT) | instid1(VALU_DEP_4)
	v_add_co_u32 v18, vcc_lo, s11, v18
	v_add_co_ci_u32_e32 v19, vcc_lo, s20, v19, vcc_lo
	s_clause 0x1
	global_load_u16 v20, v[20:21], off
	global_load_u16 v18, v[18:19], off
	v_add_co_u32 v4, vcc_lo, v4, 2
	v_add_co_ci_u32_e32 v5, vcc_lo, 0, v5, vcc_lo
	v_add_co_u32 v12, vcc_lo, v12, -2
	v_add_co_ci_u32_e32 v13, vcc_lo, -1, v13, vcc_lo
	v_add_co_u32 v2, vcc_lo, v2, 2
	v_add_co_ci_u32_e32 v3, vcc_lo, 0, v3, vcc_lo
	s_delay_alu instid0(VALU_DEP_3) | instskip(NEXT) | instid1(VALU_DEP_1)
	v_cmp_eq_u64_e64 s2, 0, v[12:13]
	s_or_b32 s27, s2, s27
	s_waitcnt vmcnt(3)
	v_cvt_f32_f16_e32 v19, v26
	s_waitcnt vmcnt(2)
	v_cvt_f32_f16_e32 v21, v24
	;; [unrolled: 2-line block ×4, first 2 shown]
	s_delay_alu instid0(VALU_DEP_2) | instskip(SKIP_1) | instid1(VALU_DEP_3)
	v_minmax_f32 v20, v20, v14, v17
	v_min_f32_e32 v19, v19, v14
	v_minmax_f32 v18, v18, v15, v16
	s_delay_alu instid0(VALU_DEP_3) | instskip(NEXT) | instid1(VALU_DEP_3)
	v_add_f32_e32 v20, 1.0, v20
	v_mul_f32_e64 v22, s26, -v19
	s_delay_alu instid0(VALU_DEP_3) | instskip(NEXT) | instid1(VALU_DEP_2)
	v_dual_min_f32 v21, v21, v15 :: v_dual_add_f32 v18, 1.0, v18
	v_dual_mul_f32 v19, v19, v20 :: v_dual_mul_f32 v24, 0x3fb8aa3b, v22
	s_delay_alu instid0(VALU_DEP_2) | instskip(NEXT) | instid1(VALU_DEP_3)
	v_mul_f32_e64 v23, s9, -v21
	v_mul_f32_e32 v18, v21, v18
	v_cmp_ngt_f32_e64 s3, 0xc2ce8ed0, v22
	s_delay_alu instid0(VALU_DEP_4) | instskip(NEXT) | instid1(VALU_DEP_4)
	v_fma_f32 v26, 0x3fb8aa3b, v22, -v24
	v_mul_f32_e32 v25, 0x3fb8aa3b, v23
	v_rndne_f32_e32 v27, v24
	v_cmp_ngt_f32_e32 vcc_lo, 0xc2ce8ed0, v23
	s_delay_alu instid0(VALU_DEP_3) | instskip(SKIP_2) | instid1(VALU_DEP_2)
	v_fma_f32 v28, 0x3fb8aa3b, v23, -v25
	v_rndne_f32_e32 v29, v25
	v_fmac_f32_e32 v26, 0x32a5705f, v22
	v_dual_fmac_f32 v28, 0x32a5705f, v23 :: v_dual_sub_f32 v25, v25, v29
	v_sub_f32_e32 v24, v24, v27
	v_cvt_i32_f32_e32 v29, v29
	v_cvt_i32_f32_e32 v27, v27
	s_delay_alu instid0(VALU_DEP_4) | instskip(NEXT) | instid1(VALU_DEP_1)
	v_add_f32_e32 v25, v25, v28
	v_exp_f32_e32 v25, v25
	s_waitcnt_depctr 0xfff
	v_ldexp_f32 v21, v25, v29
	s_delay_alu instid0(VALU_DEP_1) | instskip(NEXT) | instid1(VALU_DEP_1)
	v_dual_add_f32 v24, v24, v26 :: v_dual_cndmask_b32 v21, 0, v21
	v_exp_f32_e32 v24, v24
	v_cmp_nlt_f32_e32 vcc_lo, 0x42b17218, v23
	s_delay_alu instid0(VALU_DEP_2) | instskip(SKIP_3) | instid1(VALU_DEP_2)
	v_cndmask_b32_e32 v21, 0x7f800000, v21, vcc_lo
	s_waitcnt_depctr 0xfff
	v_ldexp_f32 v20, v24, v27
	v_add_f32_e32 v21, 1.0, v21
	v_cndmask_b32_e64 v20, 0, v20, s3
	v_cmp_nlt_f32_e64 s3, 0x42b17218, v22
	s_delay_alu instid0(VALU_DEP_3) | instskip(NEXT) | instid1(VALU_DEP_2)
	v_div_scale_f32 v23, null, v21, v21, v18
	v_cndmask_b32_e64 v20, 0x7f800000, v20, s3
	v_div_scale_f32 v27, s3, v18, v21, v18
	s_delay_alu instid0(VALU_DEP_3) | instskip(NEXT) | instid1(VALU_DEP_2)
	v_rcp_f32_e32 v26, v23
	v_add_f32_e32 v20, 1.0, v20
	s_delay_alu instid0(VALU_DEP_1) | instskip(SKIP_4) | instid1(VALU_DEP_1)
	v_div_scale_f32 v22, null, v20, v20, v19
	v_div_scale_f32 v24, vcc_lo, v19, v20, v19
	s_waitcnt_depctr 0xfff
	v_fma_f32 v29, -v23, v26, 1.0
	v_rcp_f32_e32 v25, v22
	v_fmac_f32_e32 v26, v29, v26
	s_delay_alu instid0(VALU_DEP_1) | instskip(SKIP_3) | instid1(VALU_DEP_2)
	v_mul_f32_e32 v29, v27, v26
	s_waitcnt_depctr 0xfff
	v_fma_f32 v28, -v22, v25, 1.0
	v_fma_f32 v31, -v23, v29, v27
	v_fmac_f32_e32 v25, v28, v25
	s_delay_alu instid0(VALU_DEP_1) | instskip(NEXT) | instid1(VALU_DEP_1)
	v_dual_fmac_f32 v29, v31, v26 :: v_dual_mul_f32 v28, v24, v25
	v_fma_f32 v23, -v23, v29, v27
	s_delay_alu instid0(VALU_DEP_2) | instskip(NEXT) | instid1(VALU_DEP_1)
	v_fma_f32 v30, -v22, v28, v24
	v_fmac_f32_e32 v28, v30, v25
	s_delay_alu instid0(VALU_DEP_1) | instskip(NEXT) | instid1(VALU_DEP_1)
	v_fma_f32 v22, -v22, v28, v24
	v_div_fmas_f32 v22, v22, v25, v28
	s_mov_b32 vcc_lo, s3
	v_div_fmas_f32 v23, v23, v26, v29
	s_delay_alu instid0(VALU_DEP_2) | instskip(NEXT) | instid1(VALU_DEP_2)
	v_div_fixup_f32 v19, v22, v20, v19
	v_div_fixup_f32 v18, v23, v21, v18
	s_delay_alu instid0(VALU_DEP_2) | instskip(NEXT) | instid1(VALU_DEP_2)
	v_cvt_f16_f32_e32 v19, v19
	v_cvt_f16_f32_e32 v18, v18
	s_delay_alu instid0(VALU_DEP_1)
	v_pack_b32_f16 v18, v19, v18
	global_store_b32 v[10:11], v18, off
	v_add_co_u32 v10, vcc_lo, v10, s18
	v_add_co_ci_u32_e32 v11, vcc_lo, 0, v11, vcc_lo
	s_and_not1_b32 exec_lo, exec_lo, s27
	s_cbranch_execnz .LBB57_13
; %bb.14:
	s_or_b32 exec_lo, exec_lo, s27
	v_mad_u64_u32 v[2:3], null, v8, s23, v[0:1]
	v_cmp_ne_u64_e32 vcc_lo, v[6:7], v[8:9]
	s_and_not1_b32 s2, s24, exec_lo
	s_and_b32 s3, vcc_lo, exec_lo
	s_delay_alu instid0(VALU_DEP_2) | instskip(SKIP_1) | instid1(VALU_DEP_1)
	v_mov_b32_e32 v1, v3
	s_or_b32 s24, s2, s3
	v_mad_u64_u32 v[3:4], null, v9, s23, v[1:2]
	v_dual_mov_b32 v4, s18 :: v_dual_mov_b32 v5, s19
                                        ; kill: def $vgpr1 killed $sgpr0 killed $exec
.LBB57_15:
	s_or_b32 exec_lo, exec_lo, s25
	s_delay_alu instid0(SALU_CYCLE_1)
	s_and_b32 exec_lo, exec_lo, s24
	s_cbranch_execz .LBB57_18
; %bb.16:
	s_delay_alu instid0(VALU_DEP_1)
	v_lshlrev_b64 v[6:7], 2, v[2:3]
	s_add_u32 s2, s6, s14
	s_addc_u32 s3, s7, s15
	v_lshlrev_b64 v[8:9], 1, v[2:3]
	v_max_f32_e64 v10, -s10, -s10
	s_mov_b32 s18, 0
	v_add_co_u32 v1, vcc_lo, s2, v6
	v_add_co_ci_u32_e32 v7, vcc_lo, s3, v7, vcc_lo
	s_add_u32 s2, s4, s16
	s_delay_alu instid0(VALU_DEP_2) | instskip(NEXT) | instid1(VALU_DEP_2)
	v_add_co_u32 v6, vcc_lo, v1, 2
	v_add_co_ci_u32_e32 v7, vcc_lo, 0, v7, vcc_lo
	s_addc_u32 s3, s5, s17
	v_add_co_u32 v8, vcc_lo, s2, v8
	v_add_co_ci_u32_e32 v9, vcc_lo, s3, v9, vcc_lo
	v_max_f32_e64 v1, s10, s10
	s_lshl_b32 s3, s23, 1
.LBB57_17:                              ; =>This Inner Loop Header: Depth=1
	global_load_b32 v11, v[6:7], off offset:-2
	v_add_co_u32 v2, vcc_lo, v2, s23
	v_add_co_ci_u32_e32 v3, vcc_lo, 0, v3, vcc_lo
	v_add_co_u32 v6, vcc_lo, v6, v4
	v_add_co_ci_u32_e32 v7, vcc_lo, v7, v5, vcc_lo
	s_waitcnt vmcnt(0)
	v_cvt_f32_f16_e32 v12, v11
	v_lshrrev_b32_e32 v11, 16, v11
	s_delay_alu instid0(VALU_DEP_1) | instskip(NEXT) | instid1(VALU_DEP_1)
	v_cvt_f32_f16_e32 v11, v11
	v_minmax_f32 v11, v11, v1, v10
	s_delay_alu instid0(VALU_DEP_1) | instskip(NEXT) | instid1(VALU_DEP_1)
	v_dual_min_f32 v12, v12, v1 :: v_dual_add_f32 v11, 1.0, v11
	v_mul_f32_e64 v13, -v12, s9
	s_delay_alu instid0(VALU_DEP_1) | instskip(SKIP_1) | instid1(VALU_DEP_2)
	v_dual_mul_f32 v11, v12, v11 :: v_dual_mul_f32 v14, 0x3fb8aa3b, v13
	v_cmp_ngt_f32_e64 s2, 0xc2ce8ed0, v13
	v_fma_f32 v15, 0x3fb8aa3b, v13, -v14
	v_rndne_f32_e32 v16, v14
	s_delay_alu instid0(VALU_DEP_1) | instskip(SKIP_1) | instid1(VALU_DEP_2)
	v_dual_fmac_f32 v15, 0x32a5705f, v13 :: v_dual_sub_f32 v12, v14, v16
	v_cvt_i32_f32_e32 v14, v16
	v_add_f32_e32 v12, v12, v15
	s_delay_alu instid0(VALU_DEP_1) | instskip(SKIP_2) | instid1(VALU_DEP_1)
	v_exp_f32_e32 v12, v12
	s_waitcnt_depctr 0xfff
	v_ldexp_f32 v12, v12, v14
	v_cndmask_b32_e64 v12, 0, v12, s2
	v_cmp_nlt_f32_e64 s2, 0x42b17218, v13
	s_delay_alu instid0(VALU_DEP_1) | instskip(SKIP_1) | instid1(VALU_DEP_2)
	v_cndmask_b32_e64 v12, 0x7f800000, v12, s2
	v_cmp_le_i64_e64 s2, s[12:13], v[2:3]
	v_add_f32_e32 v12, 1.0, v12
	s_delay_alu instid0(VALU_DEP_2) | instskip(NEXT) | instid1(VALU_DEP_1)
	s_or_b32 s18, s2, s18
	v_div_scale_f32 v13, null, v12, v12, v11
	v_div_scale_f32 v15, vcc_lo, v11, v12, v11
	s_delay_alu instid0(VALU_DEP_2) | instskip(SKIP_2) | instid1(VALU_DEP_1)
	v_rcp_f32_e32 v14, v13
	s_waitcnt_depctr 0xfff
	v_fma_f32 v16, -v13, v14, 1.0
	v_fmac_f32_e32 v14, v16, v14
	s_delay_alu instid0(VALU_DEP_1) | instskip(NEXT) | instid1(VALU_DEP_1)
	v_mul_f32_e32 v16, v15, v14
	v_fma_f32 v17, -v13, v16, v15
	s_delay_alu instid0(VALU_DEP_1) | instskip(NEXT) | instid1(VALU_DEP_1)
	v_fmac_f32_e32 v16, v17, v14
	v_fma_f32 v13, -v13, v16, v15
	s_delay_alu instid0(VALU_DEP_1) | instskip(NEXT) | instid1(VALU_DEP_1)
	v_div_fmas_f32 v13, v13, v14, v16
	v_div_fixup_f32 v11, v13, v12, v11
	s_delay_alu instid0(VALU_DEP_1)
	v_cvt_f16_f32_e32 v11, v11
	global_store_b16 v[8:9], v11, off
	v_add_co_u32 v8, vcc_lo, v8, s3
	v_add_co_ci_u32_e32 v9, vcc_lo, 0, v9, vcc_lo
	s_and_not1_b32 exec_lo, exec_lo, s18
	s_cbranch_execnz .LBB57_17
.LBB57_18:
	s_or_b32 exec_lo, exec_lo, s8
	s_cbranch_execnz .LBB57_25
.LBB57_19:
	v_max_f32_e64 v5, s10, s10
	v_max_f32_e64 v6, -s10, -s10
	s_lshr_b32 s8, s12, 2
	s_mov_b32 s10, exec_lo
	v_cmpx_gt_u32_e64 s8, v0
	s_cbranch_execz .LBB57_22
; %bb.20:
	s_load_b32 s2, s[0:1], 0x2c
	v_lshlrev_b32_e32 v1, 3, v0
	v_lshlrev_b32_e32 v2, 4, v0
	s_waitcnt lgkmcnt(0)
	s_and_b32 s13, s2, 0xffff
	s_add_u32 s2, s4, s16
	s_addc_u32 s3, s5, s17
	s_lshl_b32 s16, s13, 3
	v_add_co_u32 v1, s2, s2, v1
	s_add_u32 s4, s6, s14
	v_add_co_ci_u32_e64 v3, null, s3, 0, s2
	s_addc_u32 s2, s7, s15
	v_add_co_u32 v4, s3, s4, v2
	s_delay_alu instid0(VALU_DEP_1) | instskip(SKIP_2) | instid1(VALU_DEP_4)
	v_add_co_ci_u32_e64 v7, null, s2, 0, s3
	v_add_co_u32 v1, vcc_lo, v1, 4
	v_add_co_ci_u32_e32 v2, vcc_lo, 0, v3, vcc_lo
	v_add_co_u32 v3, vcc_lo, v4, 14
	s_delay_alu instid0(VALU_DEP_4)
	v_add_co_ci_u32_e32 v4, vcc_lo, 0, v7, vcc_lo
	v_mov_b32_e32 v7, v0
	s_mov_b32 s6, 0
	s_lshl_b32 s7, s13, 4
.LBB57_21:                              ; =>This Inner Loop Header: Depth=1
	global_load_b128 v[8:11], v[3:4], off offset:-14
	v_add_co_u32 v3, vcc_lo, v3, s7
	v_add_co_ci_u32_e32 v4, vcc_lo, 0, v4, vcc_lo
	s_waitcnt vmcnt(0)
	v_lshrrev_b32_e32 v12, 16, v8
	v_cvt_f32_f16_e32 v8, v8
	v_lshrrev_b32_e32 v15, 16, v11
	v_add_nc_u32_e32 v7, s13, v7
	v_lshrrev_b32_e32 v13, 16, v9
	v_lshrrev_b32_e32 v14, 16, v10
	v_min_f32_e32 v8, v8, v5
	v_cvt_f32_f16_e32 v9, v9
	v_cvt_f32_f16_e32 v10, v10
	;; [unrolled: 1-line block ×7, first 2 shown]
	v_mul_f32_e64 v16, -v8, s9
	v_min_f32_e32 v11, v11, v5
	v_minmax_f32 v12, v12, v5, v6
	v_min_f32_e32 v9, v9, v5
	v_minmax_f32 v15, v15, v5, v6
	;; [unrolled: 2-line block ×3, first 2 shown]
	v_minmax_f32 v14, v14, v5, v6
	s_delay_alu instid0(VALU_DEP_4)
	v_dual_add_f32 v12, 1.0, v12 :: v_dual_add_f32 v15, 1.0, v15
	v_mul_f32_e64 v17, -v9, s9
	v_mul_f32_e64 v18, -v10, s9
	v_mul_f32_e32 v20, 0x3fb8aa3b, v16
	v_mul_f32_e64 v19, -v11, s9
	v_dual_add_f32 v13, 1.0, v13 :: v_dual_add_f32 v14, 1.0, v14
	s_delay_alu instid0(VALU_DEP_4) | instskip(NEXT) | instid1(VALU_DEP_3)
	v_dual_mul_f32 v21, 0x3fb8aa3b, v17 :: v_dual_mul_f32 v22, 0x3fb8aa3b, v18
	v_dual_mul_f32 v23, 0x3fb8aa3b, v19 :: v_dual_mul_f32 v8, v8, v12
	v_fma_f32 v12, 0x3fb8aa3b, v16, -v20
	v_rndne_f32_e32 v24, v20
	v_dual_mul_f32 v9, v9, v13 :: v_dual_mul_f32 v10, v10, v14
	v_fma_f32 v13, 0x3fb8aa3b, v17, -v21
	v_rndne_f32_e32 v25, v21
	v_fma_f32 v14, 0x3fb8aa3b, v18, -v22
	v_rndne_f32_e32 v26, v22
	v_dual_mul_f32 v11, v11, v15 :: v_dual_fmac_f32 v12, 0x32a5705f, v16
	v_rndne_f32_e32 v27, v23
	v_dual_sub_f32 v20, v20, v24 :: v_dual_fmac_f32 v13, 0x32a5705f, v17
	v_fma_f32 v15, 0x3fb8aa3b, v19, -v23
	v_dual_sub_f32 v21, v21, v25 :: v_dual_fmac_f32 v14, 0x32a5705f, v18
	s_delay_alu instid0(VALU_DEP_4) | instskip(NEXT) | instid1(VALU_DEP_3)
	v_dual_sub_f32 v22, v22, v26 :: v_dual_sub_f32 v23, v23, v27
	v_dual_add_f32 v12, v20, v12 :: v_dual_fmac_f32 v15, 0x32a5705f, v19
	s_delay_alu instid0(VALU_DEP_2) | instskip(SKIP_1) | instid1(VALU_DEP_3)
	v_dual_add_f32 v13, v21, v13 :: v_dual_add_f32 v14, v22, v14
	v_cvt_i32_f32_e32 v24, v24
	v_exp_f32_e32 v12, v12
	v_cvt_i32_f32_e32 v26, v26
	v_cmp_ngt_f32_e64 s5, 0xc2ce8ed0, v16
	v_exp_f32_e32 v14, v14
	v_exp_f32_e32 v13, v13
	v_cmp_ngt_f32_e64 s3, 0xc2ce8ed0, v18
	v_cvt_i32_f32_e32 v25, v25
	v_cmp_ngt_f32_e32 vcc_lo, 0xc2ce8ed0, v17
	v_cvt_i32_f32_e32 v27, v27
	v_cmp_ngt_f32_e64 s4, 0xc2ce8ed0, v19
	v_ldexp_f32 v12, v12, v24
	v_cmp_le_u32_e64 s2, s8, v7
	s_delay_alu instid0(TRANS32_DEP_2) | instskip(NEXT) | instid1(TRANS32_DEP_1)
	v_ldexp_f32 v14, v14, v26
	v_ldexp_f32 v13, v13, v25
	s_delay_alu instid0(VALU_DEP_4) | instskip(SKIP_4) | instid1(VALU_DEP_3)
	v_cndmask_b32_e64 v12, 0, v12, s5
	v_cmp_nlt_f32_e64 s5, 0x42b17218, v16
	s_or_b32 s6, s2, s6
	v_cndmask_b32_e64 v14, 0, v14, s3
	v_cmp_nlt_f32_e64 s3, 0x42b17218, v18
	v_cndmask_b32_e64 v12, 0x7f800000, v12, s5
	v_add_f32_e32 v15, v23, v15
	s_delay_alu instid0(VALU_DEP_3) | instskip(NEXT) | instid1(VALU_DEP_3)
	v_cndmask_b32_e64 v14, 0x7f800000, v14, s3
	v_dual_cndmask_b32 v13, 0, v13 :: v_dual_add_f32 v12, 1.0, v12
	s_delay_alu instid0(VALU_DEP_3) | instskip(SKIP_1) | instid1(VALU_DEP_3)
	v_exp_f32_e32 v15, v15
	v_cmp_nlt_f32_e32 vcc_lo, 0x42b17218, v17
	v_add_f32_e32 v14, 1.0, v14
	s_delay_alu instid0(VALU_DEP_3) | instskip(NEXT) | instid1(VALU_DEP_2)
	v_div_scale_f32 v16, null, v12, v12, v8
	v_div_scale_f32 v20, null, v14, v14, v10
	s_delay_alu instid0(VALU_DEP_2) | instskip(SKIP_3) | instid1(VALU_DEP_1)
	v_rcp_f32_e32 v24, v16
	s_waitcnt_depctr 0xfff
	v_ldexp_f32 v15, v15, v27
	v_rcp_f32_e32 v26, v20
	v_cndmask_b32_e64 v15, 0, v15, s4
	v_cmp_nlt_f32_e64 s4, 0x42b17218, v19
	v_fma_f32 v28, -v16, v24, 1.0
	v_cndmask_b32_e32 v13, 0x7f800000, v13, vcc_lo
	s_delay_alu instid0(VALU_DEP_3) | instskip(SKIP_1) | instid1(VALU_DEP_4)
	v_cndmask_b32_e64 v15, 0x7f800000, v15, s4
	v_div_scale_f32 v17, vcc_lo, v8, v12, v8
	v_fmac_f32_e32 v24, v28, v24
	s_delay_alu instid0(TRANS32_DEP_1)
	v_fma_f32 v30, -v20, v26, 1.0
	v_add_f32_e32 v13, 1.0, v13
	v_add_f32_e32 v15, 1.0, v15
	v_div_scale_f32 v21, s4, v10, v14, v10
	v_mul_f32_e32 v28, v17, v24
	v_fmac_f32_e32 v26, v30, v26
	v_div_scale_f32 v18, null, v13, v13, v9
	v_div_scale_f32 v22, null, v15, v15, v11
	v_div_scale_f32 v19, s3, v9, v13, v9
	s_delay_alu instid0(VALU_DEP_3) | instskip(NEXT) | instid1(VALU_DEP_2)
	v_rcp_f32_e32 v25, v18
	v_rcp_f32_e32 v27, v22
	v_mul_f32_e32 v30, v21, v26
	v_fma_f32 v32, -v16, v28, v17
	v_div_scale_f32 v23, s5, v11, v15, v11
	s_delay_alu instid0(VALU_DEP_3) | instskip(NEXT) | instid1(VALU_DEP_3)
	v_fma_f32 v34, -v20, v30, v21
	v_fmac_f32_e32 v28, v32, v24
	s_delay_alu instid0(TRANS32_DEP_2) | instskip(NEXT) | instid1(TRANS32_DEP_1)
	v_fma_f32 v29, -v18, v25, 1.0
	v_fma_f32 v31, -v22, v27, 1.0
	s_delay_alu instid0(VALU_DEP_4) | instskip(NEXT) | instid1(VALU_DEP_4)
	v_fmac_f32_e32 v30, v34, v26
	v_fma_f32 v16, -v16, v28, v17
	s_delay_alu instid0(VALU_DEP_4) | instskip(NEXT) | instid1(VALU_DEP_4)
	v_fmac_f32_e32 v25, v29, v25
	v_fmac_f32_e32 v27, v31, v27
	s_delay_alu instid0(VALU_DEP_3) | instskip(SKIP_1) | instid1(VALU_DEP_3)
	v_div_fmas_f32 v16, v16, v24, v28
	s_mov_b32 vcc_lo, s3
	v_mul_f32_e32 v29, v19, v25
	s_delay_alu instid0(VALU_DEP_3) | instskip(NEXT) | instid1(VALU_DEP_3)
	v_mul_f32_e32 v31, v23, v27
	v_div_fixup_f32 v8, v16, v12, v8
	s_delay_alu instid0(VALU_DEP_3) | instskip(NEXT) | instid1(VALU_DEP_3)
	v_fma_f32 v33, -v18, v29, v19
	v_fma_f32 v35, -v22, v31, v23
	s_delay_alu instid0(VALU_DEP_3) | instskip(NEXT) | instid1(VALU_DEP_3)
	v_cvt_f16_f32_e32 v8, v8
	v_fmac_f32_e32 v29, v33, v25
	s_delay_alu instid0(VALU_DEP_3) | instskip(NEXT) | instid1(VALU_DEP_2)
	v_fmac_f32_e32 v31, v35, v27
	v_fma_f32 v17, -v18, v29, v19
	v_fma_f32 v18, -v20, v30, v21
	s_delay_alu instid0(VALU_DEP_3) | instskip(NEXT) | instid1(VALU_DEP_3)
	v_fma_f32 v19, -v22, v31, v23
	v_div_fmas_f32 v17, v17, v25, v29
	s_mov_b32 vcc_lo, s4
	s_delay_alu instid0(VALU_DEP_3) | instskip(SKIP_1) | instid1(VALU_DEP_2)
	v_div_fmas_f32 v18, v18, v26, v30
	s_mov_b32 vcc_lo, s5
	v_div_fixup_f32 v9, v17, v13, v9
	v_div_fmas_f32 v12, v19, v27, v31
	s_delay_alu instid0(VALU_DEP_3) | instskip(NEXT) | instid1(VALU_DEP_3)
	v_div_fixup_f32 v10, v18, v14, v10
	v_cvt_f16_f32_e32 v9, v9
	s_delay_alu instid0(VALU_DEP_3) | instskip(NEXT) | instid1(VALU_DEP_3)
	v_div_fixup_f32 v11, v12, v15, v11
	v_cvt_f16_f32_e32 v10, v10
	s_delay_alu instid0(VALU_DEP_3) | instskip(NEXT) | instid1(VALU_DEP_3)
	v_pack_b32_f16 v8, v8, v9
	v_cvt_f16_f32_e32 v11, v11
	s_delay_alu instid0(VALU_DEP_1)
	v_pack_b32_f16 v9, v10, v11
	global_store_b64 v[1:2], v[8:9], off offset:-4
	v_add_co_u32 v1, vcc_lo, v1, s16
	v_add_co_ci_u32_e32 v2, vcc_lo, 0, v2, vcc_lo
	s_and_not1_b32 exec_lo, exec_lo, s6
	s_cbranch_execnz .LBB57_21
.LBB57_22:
	s_or_b32 exec_lo, exec_lo, s10
	s_and_b32 s2, s12, 0x7ffffffc
	s_delay_alu instid0(SALU_CYCLE_1) | instskip(SKIP_1) | instid1(VALU_DEP_1)
	v_add_nc_u32_e32 v1, s2, v0
	s_mov_b32 s2, exec_lo
	v_cmpx_gt_i32_e64 s12, v1
	s_cbranch_execz .LBB57_25
; %bb.23:
	s_load_b32 s0, s[0:1], 0x2c
	s_lshl_b32 s1, s12, 1
	s_mov_b32 s3, 0
	s_and_b32 s1, s1, -8
	s_delay_alu instid0(SALU_CYCLE_1) | instskip(SKIP_2) | instid1(SALU_CYCLE_1)
	v_lshl_add_u32 v3, v0, 1, s1
	s_waitcnt lgkmcnt(0)
	s_and_b32 s1, s0, 0xffff
	s_lshl_b32 s2, s1, 1
.LBB57_24:                              ; =>This Inner Loop Header: Depth=1
	s_delay_alu instid0(VALU_DEP_1) | instskip(NEXT) | instid1(VALU_DEP_1)
	v_ashrrev_i32_e32 v4, 31, v3
	v_lshlrev_b64 v[7:8], 1, v[3:4]
	v_add_nc_u32_e32 v3, s2, v3
	s_delay_alu instid0(VALU_DEP_2) | instskip(NEXT) | instid1(VALU_DEP_3)
	v_add_co_u32 v7, vcc_lo, s11, v7
	v_add_co_ci_u32_e32 v8, vcc_lo, s20, v8, vcc_lo
	global_load_b32 v0, v[7:8], off
	s_waitcnt vmcnt(0)
	v_cvt_f32_f16_e32 v2, v0
	v_lshrrev_b32_e32 v0, 16, v0
	s_delay_alu instid0(VALU_DEP_2) | instskip(NEXT) | instid1(VALU_DEP_2)
	v_min_f32_e32 v2, v2, v5
	v_cvt_f32_f16_e32 v0, v0
	s_delay_alu instid0(VALU_DEP_2) | instskip(NEXT) | instid1(VALU_DEP_2)
	v_mul_f32_e64 v4, -v2, s9
	v_minmax_f32 v0, v0, v5, v6
	s_delay_alu instid0(VALU_DEP_2) | instskip(SKIP_1) | instid1(VALU_DEP_3)
	v_mul_f32_e32 v7, 0x3fb8aa3b, v4
	v_cmp_ngt_f32_e32 vcc_lo, 0xc2ce8ed0, v4
	v_add_f32_e32 v0, 1.0, v0
	s_delay_alu instid0(VALU_DEP_3) | instskip(SKIP_1) | instid1(VALU_DEP_3)
	v_fma_f32 v8, 0x3fb8aa3b, v4, -v7
	v_rndne_f32_e32 v9, v7
	v_mul_f32_e32 v0, v2, v0
	s_delay_alu instid0(VALU_DEP_2) | instskip(NEXT) | instid1(VALU_DEP_1)
	v_dual_fmac_f32 v8, 0x32a5705f, v4 :: v_dual_sub_f32 v7, v7, v9
	v_add_f32_e32 v7, v7, v8
	v_cvt_i32_f32_e32 v8, v9
	s_delay_alu instid0(VALU_DEP_2) | instskip(SKIP_2) | instid1(VALU_DEP_1)
	v_exp_f32_e32 v7, v7
	s_waitcnt_depctr 0xfff
	v_ldexp_f32 v7, v7, v8
	v_cndmask_b32_e32 v7, 0, v7, vcc_lo
	v_cmp_nlt_f32_e32 vcc_lo, 0x42b17218, v4
	s_delay_alu instid0(VALU_DEP_2) | instskip(NEXT) | instid1(VALU_DEP_1)
	v_cndmask_b32_e32 v4, 0x7f800000, v7, vcc_lo
	v_add_f32_e32 v4, 1.0, v4
	s_delay_alu instid0(VALU_DEP_1) | instskip(NEXT) | instid1(VALU_DEP_1)
	v_div_scale_f32 v2, null, v4, v4, v0
	v_rcp_f32_e32 v7, v2
	s_waitcnt_depctr 0xfff
	v_fma_f32 v8, -v2, v7, 1.0
	s_delay_alu instid0(VALU_DEP_1) | instskip(SKIP_1) | instid1(VALU_DEP_1)
	v_fmac_f32_e32 v7, v8, v7
	v_div_scale_f32 v9, vcc_lo, v0, v4, v0
	v_mul_f32_e32 v8, v9, v7
	s_delay_alu instid0(VALU_DEP_1) | instskip(NEXT) | instid1(VALU_DEP_1)
	v_fma_f32 v10, -v2, v8, v9
	v_fmac_f32_e32 v8, v10, v7
	s_delay_alu instid0(VALU_DEP_1) | instskip(SKIP_1) | instid1(VALU_DEP_2)
	v_fma_f32 v9, -v2, v8, v9
	v_ashrrev_i32_e32 v2, 31, v1
	v_div_fmas_f32 v9, v9, v7, v8
	s_delay_alu instid0(VALU_DEP_2) | instskip(SKIP_1) | instid1(VALU_DEP_3)
	v_lshlrev_b64 v[7:8], 1, v[1:2]
	v_add_nc_u32_e32 v1, s1, v1
	v_div_fixup_f32 v0, v9, v4, v0
	s_delay_alu instid0(VALU_DEP_2) | instskip(NEXT) | instid1(VALU_DEP_4)
	v_cmp_le_i32_e32 vcc_lo, s12, v1
	v_add_co_u32 v7, s0, s21, v7
	s_delay_alu instid0(VALU_DEP_3)
	v_cvt_f16_f32_e32 v0, v0
	v_add_co_ci_u32_e64 v8, s0, s22, v8, s0
	s_or_b32 s3, vcc_lo, s3
	global_store_b16 v[7:8], v0, off
	s_and_not1_b32 exec_lo, exec_lo, s3
	s_cbranch_execnz .LBB57_24
.LBB57_25:
	s_nop 0
	s_sendmsg sendmsg(MSG_DEALLOC_VGPRS)
	s_endpgm
	.section	.rodata,"a",@progbits
	.p2align	6, 0x0
	.amdhsa_kernel _ZN4vllm24swigluoai_and_mul_kernelIN3c104HalfETnPFT_RKS3_S5_ffEXadL_ZNS_17swigluoai_and_mulIS2_EES3_S5_S5_ffEEEEvPS3_PS4_iff
		.amdhsa_group_segment_fixed_size 0
		.amdhsa_private_segment_fixed_size 0
		.amdhsa_kernarg_size 288
		.amdhsa_user_sgpr_count 15
		.amdhsa_user_sgpr_dispatch_ptr 0
		.amdhsa_user_sgpr_queue_ptr 0
		.amdhsa_user_sgpr_kernarg_segment_ptr 1
		.amdhsa_user_sgpr_dispatch_id 0
		.amdhsa_user_sgpr_private_segment_size 0
		.amdhsa_wavefront_size32 1
		.amdhsa_uses_dynamic_stack 0
		.amdhsa_enable_private_segment 0
		.amdhsa_system_sgpr_workgroup_id_x 1
		.amdhsa_system_sgpr_workgroup_id_y 0
		.amdhsa_system_sgpr_workgroup_id_z 0
		.amdhsa_system_sgpr_workgroup_info 0
		.amdhsa_system_vgpr_workitem_id 0
		.amdhsa_next_free_vgpr 36
		.amdhsa_next_free_sgpr 28
		.amdhsa_reserve_vcc 1
		.amdhsa_float_round_mode_32 0
		.amdhsa_float_round_mode_16_64 0
		.amdhsa_float_denorm_mode_32 3
		.amdhsa_float_denorm_mode_16_64 3
		.amdhsa_dx10_clamp 1
		.amdhsa_ieee_mode 1
		.amdhsa_fp16_overflow 0
		.amdhsa_workgroup_processor_mode 1
		.amdhsa_memory_ordered 1
		.amdhsa_forward_progress 0
		.amdhsa_shared_vgpr_count 0
		.amdhsa_exception_fp_ieee_invalid_op 0
		.amdhsa_exception_fp_denorm_src 0
		.amdhsa_exception_fp_ieee_div_zero 0
		.amdhsa_exception_fp_ieee_overflow 0
		.amdhsa_exception_fp_ieee_underflow 0
		.amdhsa_exception_fp_ieee_inexact 0
		.amdhsa_exception_int_div_zero 0
	.end_amdhsa_kernel
	.section	.text._ZN4vllm24swigluoai_and_mul_kernelIN3c104HalfETnPFT_RKS3_S5_ffEXadL_ZNS_17swigluoai_and_mulIS2_EES3_S5_S5_ffEEEEvPS3_PS4_iff,"axG",@progbits,_ZN4vllm24swigluoai_and_mul_kernelIN3c104HalfETnPFT_RKS3_S5_ffEXadL_ZNS_17swigluoai_and_mulIS2_EES3_S5_S5_ffEEEEvPS3_PS4_iff,comdat
.Lfunc_end57:
	.size	_ZN4vllm24swigluoai_and_mul_kernelIN3c104HalfETnPFT_RKS3_S5_ffEXadL_ZNS_17swigluoai_and_mulIS2_EES3_S5_S5_ffEEEEvPS3_PS4_iff, .Lfunc_end57-_ZN4vllm24swigluoai_and_mul_kernelIN3c104HalfETnPFT_RKS3_S5_ffEXadL_ZNS_17swigluoai_and_mulIS2_EES3_S5_S5_ffEEEEvPS3_PS4_iff
                                        ; -- End function
	.section	.AMDGPU.csdata,"",@progbits
; Kernel info:
; codeLenInByte = 4352
; NumSgprs: 30
; NumVgprs: 36
; ScratchSize: 0
; MemoryBound: 0
; FloatMode: 240
; IeeeMode: 1
; LDSByteSize: 0 bytes/workgroup (compile time only)
; SGPRBlocks: 3
; VGPRBlocks: 4
; NumSGPRsForWavesPerEU: 30
; NumVGPRsForWavesPerEU: 36
; Occupancy: 16
; WaveLimiterHint : 0
; COMPUTE_PGM_RSRC2:SCRATCH_EN: 0
; COMPUTE_PGM_RSRC2:USER_SGPR: 15
; COMPUTE_PGM_RSRC2:TRAP_HANDLER: 0
; COMPUTE_PGM_RSRC2:TGID_X_EN: 1
; COMPUTE_PGM_RSRC2:TGID_Y_EN: 0
; COMPUTE_PGM_RSRC2:TGID_Z_EN: 0
; COMPUTE_PGM_RSRC2:TIDIG_COMP_CNT: 0
	.section	.text._ZN4vllm24swigluoai_and_mul_kernelIN3c108BFloat16ETnPFT_RKS3_S5_ffEXadL_ZNS_17swigluoai_and_mulIS2_EES3_S5_S5_ffEEEEvPS3_PS4_iff,"axG",@progbits,_ZN4vllm24swigluoai_and_mul_kernelIN3c108BFloat16ETnPFT_RKS3_S5_ffEXadL_ZNS_17swigluoai_and_mulIS2_EES3_S5_S5_ffEEEEvPS3_PS4_iff,comdat
	.protected	_ZN4vllm24swigluoai_and_mul_kernelIN3c108BFloat16ETnPFT_RKS3_S5_ffEXadL_ZNS_17swigluoai_and_mulIS2_EES3_S5_S5_ffEEEEvPS3_PS4_iff ; -- Begin function _ZN4vllm24swigluoai_and_mul_kernelIN3c108BFloat16ETnPFT_RKS3_S5_ffEXadL_ZNS_17swigluoai_and_mulIS2_EES3_S5_S5_ffEEEEvPS3_PS4_iff
	.globl	_ZN4vllm24swigluoai_and_mul_kernelIN3c108BFloat16ETnPFT_RKS3_S5_ffEXadL_ZNS_17swigluoai_and_mulIS2_EES3_S5_S5_ffEEEEvPS3_PS4_iff
	.p2align	8
	.type	_ZN4vllm24swigluoai_and_mul_kernelIN3c108BFloat16ETnPFT_RKS3_S5_ffEXadL_ZNS_17swigluoai_and_mulIS2_EES3_S5_S5_ffEEEEvPS3_PS4_iff,@function
_ZN4vllm24swigluoai_and_mul_kernelIN3c108BFloat16ETnPFT_RKS3_S5_ffEXadL_ZNS_17swigluoai_and_mulIS2_EES3_S5_S5_ffEEEEvPS3_PS4_iff: ; @_ZN4vllm24swigluoai_and_mul_kernelIN3c108BFloat16ETnPFT_RKS3_S5_ffEXadL_ZNS_17swigluoai_and_mulIS2_EES3_S5_S5_ffEEEEvPS3_PS4_iff
; %bb.0:
	s_load_b256 s[16:23], s[0:1], 0x0
	s_waitcnt lgkmcnt(0)
	s_ashr_i32 s7, s20, 31
	s_mul_hi_u32 s3, s20, s15
	s_mul_i32 s4, s7, s15
	s_mul_i32 s2, s20, s15
	s_add_i32 s3, s3, s4
	s_mov_b32 s6, s20
	s_lshl_b64 s[8:9], s[2:3], 2
	s_lshl_b64 s[10:11], s[2:3], 1
	s_add_u32 s14, s18, s8
	s_addc_u32 s15, s19, s9
	s_add_u32 s23, s16, s10
	s_addc_u32 s24, s17, s11
	s_and_b32 s2, s14, 15
	s_mov_b32 s3, 0
	s_delay_alu instid0(SALU_CYCLE_1) | instskip(SKIP_1) | instid1(SALU_CYCLE_1)
	s_cmp_lg_u64 s[2:3], 0
	s_cselect_b32 s2, -1, 0
	s_and_b32 vcc_lo, exec_lo, s2
	s_cbranch_vccz .LBB58_3
; %bb.1:
	s_and_not1_b32 vcc_lo, exec_lo, s2
	s_cbranch_vccz .LBB58_4
.LBB58_2:
	s_and_not1_b32 vcc_lo, exec_lo, s3
	s_cbranch_vccz .LBB58_19
	s_branch .LBB58_25
.LBB58_3:
	s_and_b32 s2, s23, 7
	s_delay_alu instid0(SALU_CYCLE_1) | instskip(SKIP_3) | instid1(SALU_CYCLE_1)
	s_cmp_lg_u64 s[2:3], 0
	s_cselect_b32 s2, -1, 0
	s_cmp_lt_i32 s6, 4
	s_cselect_b32 s3, -1, 0
	s_or_b32 s2, s3, s2
	s_mov_b32 s3, -1
	s_and_not1_b32 vcc_lo, exec_lo, s2
	s_cbranch_vccnz .LBB58_2
.LBB58_4:
	s_mov_b32 s5, exec_lo
	v_cmpx_gt_i32_e64 s6, v0
	s_cbranch_execz .LBB58_18
; %bb.5:
	s_load_b32 s2, s[0:1], 0x2c
	s_waitcnt lgkmcnt(0)
	s_and_b32 s20, s2, 0xffff
	s_delay_alu instid0(SALU_CYCLE_1) | instskip(NEXT) | instid1(VALU_DEP_1)
	v_add_co_u32 v1, s2, v0, s20
	v_add_co_ci_u32_e64 v2, null, 0, 0, s2
	s_delay_alu instid0(VALU_DEP_1) | instskip(SKIP_1) | instid1(VALU_DEP_2)
	v_cmp_gt_i64_e64 s2, s[6:7], v[1:2]
	v_cmp_lt_i64_e32 vcc_lo, s[6:7], v[1:2]
	v_cndmask_b32_e64 v6, 0, 1, s2
	v_cndmask_b32_e32 v3, s7, v2, vcc_lo
	v_cndmask_b32_e32 v4, s6, v1, vcc_lo
	s_mov_b32 s2, exec_lo
	s_delay_alu instid0(VALU_DEP_3) | instskip(SKIP_2) | instid1(VALU_DEP_3)
	v_add_co_u32 v5, vcc_lo, v1, v6
	v_mov_b32_e32 v1, 0
	v_add_co_ci_u32_e32 v2, vcc_lo, 0, v2, vcc_lo
	v_sub_co_u32 v7, vcc_lo, v4, v5
                                        ; implicit-def: $vgpr4_vgpr5
	s_delay_alu instid0(VALU_DEP_2) | instskip(NEXT) | instid1(VALU_DEP_4)
	v_sub_co_ci_u32_e32 v3, vcc_lo, v3, v2, vcc_lo
	v_mov_b32_e32 v2, v1
	s_delay_alu instid0(VALU_DEP_1)
	v_cmpx_ne_u64_e32 0, v[2:3]
	s_xor_b32 s3, exec_lo, s2
	s_cbranch_execz .LBB58_7
; %bb.6:
	v_cvt_f32_u32_e32 v2, s20
	s_sub_u32 s2, 0, s20
	s_subb_u32 s4, 0, 0
	s_delay_alu instid0(VALU_DEP_1) | instskip(NEXT) | instid1(VALU_DEP_1)
	v_fmamk_f32 v2, 0, 0x4f800000, v2
	v_rcp_f32_e32 v2, v2
	s_waitcnt_depctr 0xfff
	v_mul_f32_e32 v2, 0x5f7ffffc, v2
	s_delay_alu instid0(VALU_DEP_1) | instskip(NEXT) | instid1(VALU_DEP_1)
	v_mul_f32_e32 v4, 0x2f800000, v2
	v_trunc_f32_e32 v4, v4
	s_delay_alu instid0(VALU_DEP_1) | instskip(SKIP_1) | instid1(VALU_DEP_2)
	v_fmamk_f32 v2, v4, 0xcf800000, v2
	v_cvt_u32_f32_e32 v4, v4
	v_cvt_u32_f32_e32 v2, v2
	s_delay_alu instid0(VALU_DEP_2) | instskip(NEXT) | instid1(VALU_DEP_2)
	v_mul_lo_u32 v5, s2, v4
	v_mul_hi_u32 v8, s2, v2
	v_mul_lo_u32 v9, s4, v2
	s_delay_alu instid0(VALU_DEP_2) | instskip(SKIP_1) | instid1(VALU_DEP_2)
	v_add_nc_u32_e32 v5, v8, v5
	v_mul_lo_u32 v8, s2, v2
	v_add_nc_u32_e32 v5, v5, v9
	s_delay_alu instid0(VALU_DEP_2) | instskip(NEXT) | instid1(VALU_DEP_2)
	v_mul_hi_u32 v9, v2, v8
	v_mul_lo_u32 v10, v2, v5
	v_mul_hi_u32 v11, v2, v5
	v_mul_hi_u32 v12, v4, v8
	v_mul_lo_u32 v8, v4, v8
	v_mul_hi_u32 v13, v4, v5
	v_mul_lo_u32 v5, v4, v5
	v_add_co_u32 v9, vcc_lo, v9, v10
	v_add_co_ci_u32_e32 v10, vcc_lo, 0, v11, vcc_lo
	s_delay_alu instid0(VALU_DEP_2) | instskip(NEXT) | instid1(VALU_DEP_2)
	v_add_co_u32 v8, vcc_lo, v9, v8
	v_add_co_ci_u32_e32 v8, vcc_lo, v10, v12, vcc_lo
	v_add_co_ci_u32_e32 v9, vcc_lo, 0, v13, vcc_lo
	s_delay_alu instid0(VALU_DEP_2) | instskip(NEXT) | instid1(VALU_DEP_2)
	v_add_co_u32 v5, vcc_lo, v8, v5
	v_add_co_ci_u32_e32 v8, vcc_lo, 0, v9, vcc_lo
	s_delay_alu instid0(VALU_DEP_2) | instskip(NEXT) | instid1(VALU_DEP_2)
	v_add_co_u32 v2, vcc_lo, v2, v5
	v_add_co_ci_u32_e32 v4, vcc_lo, v4, v8, vcc_lo
	s_delay_alu instid0(VALU_DEP_2) | instskip(SKIP_1) | instid1(VALU_DEP_3)
	v_mul_hi_u32 v5, s2, v2
	v_mul_lo_u32 v9, s4, v2
	v_mul_lo_u32 v8, s2, v4
	s_delay_alu instid0(VALU_DEP_1) | instskip(SKIP_1) | instid1(VALU_DEP_2)
	v_add_nc_u32_e32 v5, v5, v8
	v_mul_lo_u32 v8, s2, v2
	v_add_nc_u32_e32 v5, v5, v9
	s_delay_alu instid0(VALU_DEP_2) | instskip(NEXT) | instid1(VALU_DEP_2)
	v_mul_hi_u32 v9, v2, v8
	v_mul_lo_u32 v10, v2, v5
	v_mul_hi_u32 v11, v2, v5
	v_mul_hi_u32 v12, v4, v8
	v_mul_lo_u32 v8, v4, v8
	v_mul_hi_u32 v13, v4, v5
	v_mul_lo_u32 v5, v4, v5
	v_add_co_u32 v9, vcc_lo, v9, v10
	v_add_co_ci_u32_e32 v10, vcc_lo, 0, v11, vcc_lo
	s_delay_alu instid0(VALU_DEP_2) | instskip(NEXT) | instid1(VALU_DEP_2)
	v_add_co_u32 v8, vcc_lo, v9, v8
	v_add_co_ci_u32_e32 v8, vcc_lo, v10, v12, vcc_lo
	v_add_co_ci_u32_e32 v9, vcc_lo, 0, v13, vcc_lo
	s_delay_alu instid0(VALU_DEP_2) | instskip(NEXT) | instid1(VALU_DEP_2)
	v_add_co_u32 v5, vcc_lo, v8, v5
	v_add_co_ci_u32_e32 v8, vcc_lo, 0, v9, vcc_lo
	s_delay_alu instid0(VALU_DEP_2) | instskip(NEXT) | instid1(VALU_DEP_2)
	v_add_co_u32 v2, vcc_lo, v2, v5
	v_add_co_ci_u32_e32 v12, vcc_lo, v4, v8, vcc_lo
	s_delay_alu instid0(VALU_DEP_2) | instskip(SKIP_1) | instid1(VALU_DEP_3)
	v_mul_hi_u32 v13, v7, v2
	v_mad_u64_u32 v[8:9], null, v3, v2, 0
	v_mad_u64_u32 v[4:5], null, v7, v12, 0
	v_mad_u64_u32 v[10:11], null, v3, v12, 0
	s_delay_alu instid0(VALU_DEP_2) | instskip(NEXT) | instid1(VALU_DEP_3)
	v_add_co_u32 v2, vcc_lo, v13, v4
	v_add_co_ci_u32_e32 v4, vcc_lo, 0, v5, vcc_lo
	s_delay_alu instid0(VALU_DEP_2) | instskip(NEXT) | instid1(VALU_DEP_2)
	v_add_co_u32 v2, vcc_lo, v2, v8
	v_add_co_ci_u32_e32 v2, vcc_lo, v4, v9, vcc_lo
	v_add_co_ci_u32_e32 v4, vcc_lo, 0, v11, vcc_lo
	s_delay_alu instid0(VALU_DEP_2) | instskip(NEXT) | instid1(VALU_DEP_2)
	v_add_co_u32 v10, vcc_lo, v2, v10
	v_add_co_ci_u32_e32 v11, vcc_lo, 0, v4, vcc_lo
	s_delay_alu instid0(VALU_DEP_2) | instskip(NEXT) | instid1(VALU_DEP_1)
	v_mad_u64_u32 v[4:5], null, s20, v10, 0
	v_mov_b32_e32 v2, v5
	s_delay_alu instid0(VALU_DEP_1) | instskip(NEXT) | instid1(VALU_DEP_3)
	v_mad_u64_u32 v[8:9], null, s20, v11, v[2:3]
	v_sub_co_u32 v2, vcc_lo, v7, v4
	s_delay_alu instid0(VALU_DEP_2) | instskip(NEXT) | instid1(VALU_DEP_2)
	v_sub_co_ci_u32_e32 v3, vcc_lo, v3, v8, vcc_lo
	v_sub_co_u32 v4, vcc_lo, v2, s20
	s_delay_alu instid0(VALU_DEP_2) | instskip(NEXT) | instid1(VALU_DEP_2)
	v_subrev_co_ci_u32_e32 v5, vcc_lo, 0, v3, vcc_lo
	v_cmp_le_u32_e32 vcc_lo, s20, v4
	v_cmp_eq_u32_e64 s2, 0, v3
	v_cndmask_b32_e64 v4, 0, -1, vcc_lo
	v_add_co_u32 v7, vcc_lo, v10, 2
	v_add_co_ci_u32_e32 v8, vcc_lo, 0, v11, vcc_lo
	v_cmp_le_u32_e32 vcc_lo, s20, v2
	v_cndmask_b32_e64 v2, 0, -1, vcc_lo
	v_cmp_eq_u32_e32 vcc_lo, 0, v5
	s_delay_alu instid0(VALU_DEP_2) | instskip(SKIP_3) | instid1(VALU_DEP_3)
	v_cndmask_b32_e64 v2, -1, v2, s2
	v_cndmask_b32_e32 v4, -1, v4, vcc_lo
	v_add_co_u32 v5, vcc_lo, v10, 1
	v_add_co_ci_u32_e32 v9, vcc_lo, 0, v11, vcc_lo
	v_cmp_ne_u32_e32 vcc_lo, 0, v4
	s_delay_alu instid0(VALU_DEP_2) | instskip(NEXT) | instid1(VALU_DEP_4)
	v_cndmask_b32_e32 v3, v9, v8, vcc_lo
	v_cndmask_b32_e32 v4, v5, v7, vcc_lo
	v_cmp_ne_u32_e32 vcc_lo, 0, v2
                                        ; kill: def $vgpr2 killed $sgpr0 killed $exec
                                        ; implicit-def: $vgpr7
	s_delay_alu instid0(VALU_DEP_2)
	v_dual_cndmask_b32 v5, v11, v3 :: v_dual_cndmask_b32 v4, v10, v4
.LBB58_7:
	s_and_not1_saveexec_b32 s2, s3
	s_cbranch_execz .LBB58_9
; %bb.8:
	v_cvt_f32_u32_e32 v2, s20
	s_sub_i32 s3, 0, s20
	s_delay_alu instid0(VALU_DEP_1) | instskip(SKIP_2) | instid1(VALU_DEP_1)
	v_rcp_iflag_f32_e32 v2, v2
	s_waitcnt_depctr 0xfff
	v_mul_f32_e32 v2, 0x4f7ffffe, v2
	v_cvt_u32_f32_e32 v2, v2
	s_delay_alu instid0(VALU_DEP_1) | instskip(NEXT) | instid1(VALU_DEP_1)
	v_mul_lo_u32 v3, s3, v2
	v_mul_hi_u32 v3, v2, v3
	s_delay_alu instid0(VALU_DEP_1) | instskip(NEXT) | instid1(VALU_DEP_1)
	v_add_nc_u32_e32 v2, v2, v3
	v_mul_hi_u32 v2, v7, v2
	s_delay_alu instid0(VALU_DEP_1) | instskip(SKIP_1) | instid1(VALU_DEP_2)
	v_mul_lo_u32 v3, v2, s20
	v_add_nc_u32_e32 v4, 1, v2
	v_sub_nc_u32_e32 v3, v7, v3
	s_delay_alu instid0(VALU_DEP_1) | instskip(SKIP_1) | instid1(VALU_DEP_2)
	v_subrev_nc_u32_e32 v5, s20, v3
	v_cmp_le_u32_e32 vcc_lo, s20, v3
	v_cndmask_b32_e32 v3, v3, v5, vcc_lo
	v_dual_mov_b32 v5, 0 :: v_dual_cndmask_b32 v2, v2, v4
	s_delay_alu instid0(VALU_DEP_2) | instskip(NEXT) | instid1(VALU_DEP_2)
	v_cmp_le_u32_e32 vcc_lo, s20, v3
	v_add_nc_u32_e32 v4, 1, v2
	s_delay_alu instid0(VALU_DEP_1)
	v_cndmask_b32_e32 v4, v2, v4, vcc_lo
.LBB58_9:
	s_or_b32 exec_lo, exec_lo, s2
	s_delay_alu instid0(VALU_DEP_1) | instskip(SKIP_2) | instid1(VALU_DEP_3)
	v_add_co_u32 v2, vcc_lo, v4, v6
	v_add_co_ci_u32_e32 v3, vcc_lo, 0, v5, vcc_lo
	v_cmp_ne_u16_e64 s2, s20, 1
	v_add_co_u32 v6, vcc_lo, v2, 1
	s_delay_alu instid0(VALU_DEP_3) | instskip(SKIP_1) | instid1(VALU_DEP_1)
	v_add_co_ci_u32_e32 v7, vcc_lo, 0, v3, vcc_lo
	s_mov_b32 s25, 0
                                        ; kill: def $vgpr2_vgpr3 killed $sgpr0_sgpr1 killed $exec
	v_cmp_gt_u64_e32 vcc_lo, 2, v[6:7]
	v_mov_b32_e32 v9, v7
	s_or_b32 s4, vcc_lo, s2
                                        ; implicit-def: $sgpr2_sgpr3
	s_delay_alu instid0(SALU_CYCLE_1) | instskip(NEXT) | instid1(SALU_CYCLE_1)
	s_and_saveexec_b32 s12, s4
	s_xor_b32 s4, exec_lo, s12
; %bb.10:
	s_mov_b32 s25, exec_lo
	s_lshl_b32 s2, s20, 2
	s_mov_b32 s3, 0
                                        ; implicit-def: $vgpr6_vgpr7
                                        ; implicit-def: $vgpr9
; %bb.11:
	s_or_saveexec_b32 s26, s4
	v_dual_mov_b32 v5, s3 :: v_dual_mov_b32 v4, s2
	v_dual_mov_b32 v3, v1 :: v_dual_mov_b32 v2, v0
	s_xor_b32 exec_lo, exec_lo, s26
	s_cbranch_execz .LBB58_15
; %bb.12:
	v_add_co_u32 v2, s2, v0, s20
	s_delay_alu instid0(VALU_DEP_1)
	v_add_co_ci_u32_e64 v3, null, 0, 0, s2
	v_and_b32_e32 v8, -2, v6
	v_lshlrev_b32_e32 v4, 1, v0
	s_xor_b32 s2, s22, 0x80000000
	s_mov_b32 s3, s22
	s_mov_b32 s4, s2
	v_max_f32_e64 v14, s3, s3
	v_add_co_u32 v10, s12, s23, v4
	v_mov_b32_e32 v5, v3
	v_mov_b32_e32 v13, v9
	v_add_co_ci_u32_e64 v11, null, s24, 0, s12
	v_max_f32_e64 v15, s22, s22
	v_max_f32_e64 v16, s2, s2
	;; [unrolled: 1-line block ×3, first 2 shown]
	v_mov_b32_e32 v12, v8
	v_dual_mov_b32 v4, v2 :: v_dual_mov_b32 v3, v1
	v_mov_b32_e32 v2, v0
	s_mov_b32 s13, 0
	s_mov_b32 s27, s21
	s_lshl_b32 s12, s20, 2
	s_mov_b32 s28, s13
.LBB58_13:                              ; =>This Inner Loop Header: Depth=1
	v_lshlrev_b64 v[22:23], 1, v[4:5]
	v_lshlrev_b64 v[20:21], 1, v[2:3]
	;; [unrolled: 1-line block ×4, first 2 shown]
	s_delay_alu instid0(VALU_DEP_4) | instskip(NEXT) | instid1(VALU_DEP_4)
	v_or_b32_e32 v22, 1, v22
	v_or_b32_e32 v20, 1, v20
	s_delay_alu instid0(VALU_DEP_4) | instskip(SKIP_1) | instid1(VALU_DEP_4)
	v_add_co_u32 v18, vcc_lo, s14, v18
	v_add_co_ci_u32_e32 v19, vcc_lo, s15, v19, vcc_lo
	v_lshlrev_b64 v[22:23], 1, v[22:23]
	v_add_co_u32 v24, vcc_lo, s14, v24
	v_lshlrev_b64 v[20:21], 1, v[20:21]
	v_add_co_ci_u32_e32 v25, vcc_lo, s15, v25, vcc_lo
	s_delay_alu instid0(VALU_DEP_4) | instskip(SKIP_1) | instid1(VALU_DEP_4)
	v_add_co_u32 v22, vcc_lo, s14, v22
	v_add_co_ci_u32_e32 v23, vcc_lo, s15, v23, vcc_lo
	v_add_co_u32 v20, vcc_lo, s14, v20
	v_add_co_ci_u32_e32 v21, vcc_lo, s15, v21, vcc_lo
	s_clause 0x3
	global_load_u16 v24, v[24:25], off
	global_load_u16 v22, v[22:23], off
	;; [unrolled: 1-line block ×4, first 2 shown]
	v_add_co_u32 v4, vcc_lo, v4, 2
	v_add_co_ci_u32_e32 v5, vcc_lo, 0, v5, vcc_lo
	v_add_co_u32 v12, vcc_lo, v12, -2
	v_add_co_ci_u32_e32 v13, vcc_lo, -1, v13, vcc_lo
	v_add_co_u32 v2, vcc_lo, v2, 2
	v_add_co_ci_u32_e32 v3, vcc_lo, 0, v3, vcc_lo
	s_delay_alu instid0(VALU_DEP_3) | instskip(NEXT) | instid1(VALU_DEP_1)
	v_cmp_eq_u64_e64 s2, 0, v[12:13]
	s_or_b32 s28, s2, s28
	s_waitcnt vmcnt(1)
	v_lshlrev_b32_e32 v20, 16, v20
	s_waitcnt vmcnt(0)
	v_lshlrev_b32_e32 v18, 16, v18
	v_lshlrev_b32_e32 v19, 16, v24
	s_delay_alu instid0(VALU_DEP_3) | instskip(NEXT) | instid1(VALU_DEP_2)
	v_max_f32_e32 v20, v20, v20
	v_dual_max_f32 v18, v18, v18 :: v_dual_max_f32 v19, v19, v19
	v_lshlrev_b32_e32 v21, 16, v22
	s_delay_alu instid0(VALU_DEP_3) | instskip(NEXT) | instid1(VALU_DEP_3)
	v_minmax_f32 v20, v20, v15, v16
	v_dual_min_f32 v18, v18, v15 :: v_dual_min_f32 v19, v19, v14
	s_delay_alu instid0(VALU_DEP_2) | instskip(NEXT) | instid1(VALU_DEP_2)
	v_dual_max_f32 v21, v21, v21 :: v_dual_add_f32 v20, 1.0, v20
	v_mul_f32_e64 v26, s27, -v18
	s_delay_alu instid0(VALU_DEP_3) | instskip(NEXT) | instid1(VALU_DEP_3)
	v_mul_f32_e64 v22, s21, -v19
	v_minmax_f32 v21, v21, v14, v17
	s_delay_alu instid0(VALU_DEP_2) | instskip(SKIP_1) | instid1(VALU_DEP_2)
	v_dual_mul_f32 v18, v18, v20 :: v_dual_mul_f32 v23, 0x3fb8aa3b, v22
	v_cmp_ngt_f32_e32 vcc_lo, 0xc2ce8ed0, v22
	v_fma_f32 v24, 0x3fb8aa3b, v22, -v23
	v_rndne_f32_e32 v25, v23
	s_delay_alu instid0(VALU_DEP_2) | instskip(NEXT) | instid1(VALU_DEP_2)
	v_dual_add_f32 v21, 1.0, v21 :: v_dual_fmac_f32 v24, 0x32a5705f, v22
	v_sub_f32_e32 v23, v23, v25
	v_mul_f32_e32 v27, 0x3fb8aa3b, v26
	v_cvt_i32_f32_e32 v25, v25
	s_delay_alu instid0(VALU_DEP_3) | instskip(NEXT) | instid1(VALU_DEP_3)
	v_add_f32_e32 v20, v23, v24
	v_rndne_f32_e32 v23, v27
	s_delay_alu instid0(VALU_DEP_2) | instskip(NEXT) | instid1(VALU_DEP_1)
	v_exp_f32_e32 v20, v20
	v_sub_f32_e32 v24, v27, v23
	v_cvt_i32_f32_e32 v23, v23
	s_waitcnt_depctr 0xfff
	v_ldexp_f32 v20, v20, v25
	v_mul_f32_e32 v19, v19, v21
	v_fma_f32 v21, 0x3fb8aa3b, v26, -v27
	s_delay_alu instid0(VALU_DEP_3) | instskip(SKIP_1) | instid1(VALU_DEP_3)
	v_cndmask_b32_e32 v20, 0, v20, vcc_lo
	v_cmp_nlt_f32_e32 vcc_lo, 0x42b17218, v22
	v_fmac_f32_e32 v21, 0x32a5705f, v26
	s_delay_alu instid0(VALU_DEP_1) | instskip(SKIP_1) | instid1(VALU_DEP_2)
	v_dual_cndmask_b32 v20, 0x7f800000, v20 :: v_dual_add_f32 v21, v24, v21
	v_cmp_ngt_f32_e32 vcc_lo, 0xc2ce8ed0, v26
	v_exp_f32_e32 v21, v21
	s_waitcnt_depctr 0xfff
	v_ldexp_f32 v21, v21, v23
	s_delay_alu instid0(VALU_DEP_1) | instskip(NEXT) | instid1(VALU_DEP_1)
	v_dual_add_f32 v20, 1.0, v20 :: v_dual_cndmask_b32 v21, 0, v21
	v_div_scale_f32 v22, null, v20, v20, v19
	v_cmp_nlt_f32_e32 vcc_lo, 0x42b17218, v26
	v_div_scale_f32 v23, s3, v19, v20, v19
	s_delay_alu instid0(VALU_DEP_3) | instskip(SKIP_4) | instid1(VALU_DEP_1)
	v_rcp_f32_e32 v24, v22
	s_waitcnt_depctr 0xfff
	v_fma_f32 v27, -v22, v24, 1.0
	v_cndmask_b32_e32 v21, 0x7f800000, v21, vcc_lo
	s_mov_b32 vcc_lo, s3
	v_dual_fmac_f32 v24, v27, v24 :: v_dual_add_f32 v21, 1.0, v21
	s_delay_alu instid0(VALU_DEP_1) | instskip(NEXT) | instid1(VALU_DEP_2)
	v_mul_f32_e32 v27, v23, v24
	v_div_scale_f32 v25, null, v21, v21, v18
	s_delay_alu instid0(VALU_DEP_2) | instskip(NEXT) | instid1(VALU_DEP_2)
	v_fma_f32 v30, -v22, v27, v23
	v_rcp_f32_e32 v28, v25
	s_delay_alu instid0(VALU_DEP_1) | instskip(NEXT) | instid1(VALU_DEP_1)
	v_fmac_f32_e32 v27, v30, v24
	v_fma_f32 v22, -v22, v27, v23
	s_waitcnt_depctr 0xfff
	v_fma_f32 v29, -v25, v28, 1.0
	v_div_fmas_f32 v22, v22, v24, v27
	s_delay_alu instid0(VALU_DEP_2) | instskip(SKIP_1) | instid1(VALU_DEP_1)
	v_fmac_f32_e32 v28, v29, v28
	v_div_scale_f32 v26, s4, v18, v21, v18
	s_mov_b32 vcc_lo, s4
	s_delay_alu instid0(VALU_DEP_3) | instskip(NEXT) | instid1(VALU_DEP_2)
	v_div_fixup_f32 v19, v22, v20, v19
	v_mul_f32_e32 v29, v26, v28
	s_delay_alu instid0(VALU_DEP_2) | instskip(NEXT) | instid1(VALU_DEP_2)
	v_bfe_u32 v22, v19, 16, 1
	v_fma_f32 v23, -v25, v29, v26
	s_delay_alu instid0(VALU_DEP_2) | instskip(NEXT) | instid1(VALU_DEP_2)
	v_add3_u32 v22, v19, v22, 0x7fff
	v_fmac_f32_e32 v29, v23, v28
	s_delay_alu instid0(VALU_DEP_1) | instskip(NEXT) | instid1(VALU_DEP_1)
	v_fma_f32 v20, -v25, v29, v26
	v_div_fmas_f32 v20, v20, v28, v29
	v_cmp_o_f32_e32 vcc_lo, v19, v19
	s_delay_alu instid0(VALU_DEP_2) | instskip(SKIP_1) | instid1(VALU_DEP_2)
	v_div_fixup_f32 v18, v20, v21, v18
	v_lshrrev_b32_e32 v20, 16, v22
	v_bfe_u32 v19, v18, 16, 1
	s_delay_alu instid0(VALU_DEP_2) | instskip(SKIP_1) | instid1(VALU_DEP_3)
	v_cndmask_b32_e32 v20, 0x7fc0, v20, vcc_lo
	v_cmp_o_f32_e32 vcc_lo, v18, v18
	v_add3_u32 v19, v18, v19, 0x7fff
	s_delay_alu instid0(VALU_DEP_1) | instskip(NEXT) | instid1(VALU_DEP_1)
	v_lshrrev_b32_e32 v19, 16, v19
	v_cndmask_b32_e32 v18, 0x7fc0, v19, vcc_lo
	s_delay_alu instid0(VALU_DEP_1)
	v_perm_b32 v18, v20, v18, 0x5040100
	global_store_b32 v[10:11], v18, off
	v_add_co_u32 v10, vcc_lo, v10, s12
	v_add_co_ci_u32_e32 v11, vcc_lo, 0, v11, vcc_lo
	s_and_not1_b32 exec_lo, exec_lo, s28
	s_cbranch_execnz .LBB58_13
; %bb.14:
	s_or_b32 exec_lo, exec_lo, s28
	v_mad_u64_u32 v[2:3], null, v8, s20, v[0:1]
	v_cmp_ne_u64_e32 vcc_lo, v[6:7], v[8:9]
	s_and_not1_b32 s2, s25, exec_lo
	s_and_b32 s3, vcc_lo, exec_lo
	s_delay_alu instid0(VALU_DEP_2) | instskip(SKIP_1) | instid1(VALU_DEP_1)
	v_mov_b32_e32 v1, v3
	s_or_b32 s25, s2, s3
	v_mad_u64_u32 v[3:4], null, v9, s20, v[1:2]
	v_dual_mov_b32 v4, s12 :: v_dual_mov_b32 v5, s13
                                        ; kill: def $vgpr1 killed $sgpr0 killed $exec
.LBB58_15:
	s_or_b32 exec_lo, exec_lo, s26
	s_delay_alu instid0(SALU_CYCLE_1)
	s_and_b32 exec_lo, exec_lo, s25
	s_cbranch_execz .LBB58_18
; %bb.16:
	s_delay_alu instid0(VALU_DEP_1)
	v_lshlrev_b64 v[6:7], 2, v[2:3]
	s_add_u32 s2, s18, s8
	s_addc_u32 s3, s19, s9
	v_lshlrev_b64 v[8:9], 1, v[2:3]
	v_max_f32_e64 v10, -s22, -s22
	s_mov_b32 s4, 0
	v_add_co_u32 v1, vcc_lo, s2, v6
	v_add_co_ci_u32_e32 v7, vcc_lo, s3, v7, vcc_lo
	s_add_u32 s2, s16, s10
	s_delay_alu instid0(VALU_DEP_2) | instskip(NEXT) | instid1(VALU_DEP_2)
	v_add_co_u32 v6, vcc_lo, v1, 2
	v_add_co_ci_u32_e32 v7, vcc_lo, 0, v7, vcc_lo
	s_addc_u32 s3, s17, s11
	v_add_co_u32 v8, vcc_lo, s2, v8
	v_add_co_ci_u32_e32 v9, vcc_lo, s3, v9, vcc_lo
	v_max_f32_e64 v1, s22, s22
	s_lshl_b32 s3, s20, 1
.LBB58_17:                              ; =>This Inner Loop Header: Depth=1
	global_load_b32 v11, v[6:7], off offset:-2
	v_add_co_u32 v2, vcc_lo, v2, s20
	v_add_co_ci_u32_e32 v3, vcc_lo, 0, v3, vcc_lo
	v_add_co_u32 v6, vcc_lo, v6, v4
	v_add_co_ci_u32_e32 v7, vcc_lo, v7, v5, vcc_lo
	s_waitcnt vmcnt(0)
	v_lshlrev_b32_e32 v12, 16, v11
	s_delay_alu instid0(VALU_DEP_1) | instskip(NEXT) | instid1(VALU_DEP_1)
	v_dual_max_f32 v12, v12, v12 :: v_dual_and_b32 v11, 0xffff0000, v11
	v_dual_max_f32 v11, v11, v11 :: v_dual_min_f32 v12, v12, v1
	s_delay_alu instid0(VALU_DEP_1) | instskip(NEXT) | instid1(VALU_DEP_2)
	v_minmax_f32 v11, v11, v1, v10
	v_mul_f32_e64 v13, -v12, s21
	s_delay_alu instid0(VALU_DEP_1) | instskip(NEXT) | instid1(VALU_DEP_1)
	v_dual_add_f32 v11, 1.0, v11 :: v_dual_mul_f32 v14, 0x3fb8aa3b, v13
	v_mul_f32_e32 v11, v12, v11
	v_cmp_ngt_f32_e64 s2, 0xc2ce8ed0, v13
	s_delay_alu instid0(VALU_DEP_3) | instskip(SKIP_1) | instid1(VALU_DEP_2)
	v_fma_f32 v12, 0x3fb8aa3b, v13, -v14
	v_rndne_f32_e32 v15, v14
	v_fmac_f32_e32 v12, 0x32a5705f, v13
	s_delay_alu instid0(VALU_DEP_2) | instskip(NEXT) | instid1(VALU_DEP_1)
	v_sub_f32_e32 v14, v14, v15
	v_add_f32_e32 v12, v14, v12
	v_cvt_i32_f32_e32 v14, v15
	s_delay_alu instid0(VALU_DEP_2) | instskip(SKIP_2) | instid1(VALU_DEP_1)
	v_exp_f32_e32 v12, v12
	s_waitcnt_depctr 0xfff
	v_ldexp_f32 v12, v12, v14
	v_cndmask_b32_e64 v12, 0, v12, s2
	v_cmp_nlt_f32_e64 s2, 0x42b17218, v13
	s_delay_alu instid0(VALU_DEP_1) | instskip(SKIP_1) | instid1(VALU_DEP_2)
	v_cndmask_b32_e64 v12, 0x7f800000, v12, s2
	v_cmp_le_i64_e64 s2, s[6:7], v[2:3]
	v_add_f32_e32 v12, 1.0, v12
	s_delay_alu instid0(VALU_DEP_2) | instskip(NEXT) | instid1(VALU_DEP_1)
	s_or_b32 s4, s2, s4
	v_div_scale_f32 v13, null, v12, v12, v11
	v_div_scale_f32 v15, vcc_lo, v11, v12, v11
	s_delay_alu instid0(VALU_DEP_2) | instskip(SKIP_2) | instid1(VALU_DEP_1)
	v_rcp_f32_e32 v14, v13
	s_waitcnt_depctr 0xfff
	v_fma_f32 v16, -v13, v14, 1.0
	v_fmac_f32_e32 v14, v16, v14
	s_delay_alu instid0(VALU_DEP_1) | instskip(NEXT) | instid1(VALU_DEP_1)
	v_mul_f32_e32 v16, v15, v14
	v_fma_f32 v17, -v13, v16, v15
	s_delay_alu instid0(VALU_DEP_1) | instskip(NEXT) | instid1(VALU_DEP_1)
	v_fmac_f32_e32 v16, v17, v14
	v_fma_f32 v13, -v13, v16, v15
	s_delay_alu instid0(VALU_DEP_1) | instskip(NEXT) | instid1(VALU_DEP_1)
	v_div_fmas_f32 v13, v13, v14, v16
	v_div_fixup_f32 v11, v13, v12, v11
	s_delay_alu instid0(VALU_DEP_1) | instskip(SKIP_1) | instid1(VALU_DEP_2)
	v_bfe_u32 v12, v11, 16, 1
	v_cmp_o_f32_e32 vcc_lo, v11, v11
	v_add3_u32 v12, v11, v12, 0x7fff
	s_delay_alu instid0(VALU_DEP_1) | instskip(NEXT) | instid1(VALU_DEP_1)
	v_lshrrev_b32_e32 v12, 16, v12
	v_cndmask_b32_e32 v11, 0x7fc0, v12, vcc_lo
	global_store_b16 v[8:9], v11, off
	v_add_co_u32 v8, vcc_lo, v8, s3
	v_add_co_ci_u32_e32 v9, vcc_lo, 0, v9, vcc_lo
	s_and_not1_b32 exec_lo, exec_lo, s4
	s_cbranch_execnz .LBB58_17
.LBB58_18:
	s_or_b32 exec_lo, exec_lo, s5
	s_cbranch_execnz .LBB58_25
.LBB58_19:
	v_max_f32_e64 v5, s22, s22
	v_max_f32_e64 v6, -s22, -s22
	s_lshr_b32 s7, s6, 2
	s_mov_b32 s12, exec_lo
	v_cmpx_gt_u32_e64 s7, v0
	s_cbranch_execz .LBB58_22
; %bb.20:
	s_load_b32 s2, s[0:1], 0x2c
	v_dual_mov_b32 v7, v0 :: v_dual_lshlrev_b32 v2, 4, v0
	v_lshlrev_b32_e32 v1, 3, v0
	s_waitcnt lgkmcnt(0)
	s_and_b32 s13, s2, 0xffff
	s_add_u32 s2, s16, s10
	s_addc_u32 s3, s17, s11
	s_lshl_b32 s10, s13, 3
	s_add_u32 s4, s18, s8
	s_addc_u32 s5, s19, s9
	v_add_co_u32 v3, s4, s4, v2
	s_delay_alu instid0(VALU_DEP_1) | instskip(SKIP_1) | instid1(VALU_DEP_3)
	v_add_co_ci_u32_e64 v4, null, s5, 0, s4
	v_add_co_u32 v1, s2, s2, v1
	v_add_co_u32 v3, vcc_lo, v3, 14
	v_add_co_ci_u32_e64 v2, null, s3, 0, s2
	s_delay_alu instid0(VALU_DEP_4)
	v_add_co_ci_u32_e32 v4, vcc_lo, 0, v4, vcc_lo
	s_mov_b32 s8, 0
	s_lshl_b32 s9, s13, 4
.LBB58_21:                              ; =>This Inner Loop Header: Depth=1
	global_load_b128 v[8:11], v[3:4], off offset:-14
	v_add_co_u32 v3, vcc_lo, v3, s9
	v_add_co_ci_u32_e32 v4, vcc_lo, 0, v4, vcc_lo
	s_waitcnt vmcnt(0)
	v_lshlrev_b32_e32 v15, 16, v11
	v_lshlrev_b32_e32 v14, 16, v10
	v_and_b32_e32 v11, 0xffff0000, v11
	v_and_b32_e32 v10, 0xffff0000, v10
	v_lshlrev_b32_e32 v13, 16, v9
	s_delay_alu instid0(VALU_DEP_3) | instskip(NEXT) | instid1(VALU_DEP_3)
	v_dual_max_f32 v11, v11, v11 :: v_dual_lshlrev_b32 v12, 16, v8
	v_dual_max_f32 v10, v10, v10 :: v_dual_max_f32 v15, v15, v15
	v_dual_max_f32 v14, v14, v14 :: v_dual_and_b32 v9, 0xffff0000, v9
	v_and_b32_e32 v8, 0xffff0000, v8
	s_delay_alu instid0(VALU_DEP_3) | instskip(NEXT) | instid1(VALU_DEP_4)
	v_minmax_f32 v10, v10, v5, v6
	v_min_f32_e32 v15, v15, v5
	s_delay_alu instid0(VALU_DEP_4) | instskip(SKIP_4) | instid1(VALU_DEP_3)
	v_max_f32_e32 v9, v9, v9
	v_minmax_f32 v11, v11, v5, v6
	v_max_f32_e32 v8, v8, v8
	v_dual_add_f32 v10, 1.0, v10 :: v_dual_max_f32 v13, v13, v13
	v_dual_max_f32 v12, v12, v12 :: v_dual_add_nc_u32 v7, s13, v7
	v_minmax_f32 v8, v8, v5, v6
	v_minmax_f32 v9, v9, v5, v6
	s_delay_alu instid0(VALU_DEP_4) | instskip(SKIP_2) | instid1(VALU_DEP_4)
	v_min_f32_e32 v13, v13, v5
	v_dual_min_f32 v14, v14, v5 :: v_dual_add_f32 v11, 1.0, v11
	v_min_f32_e32 v12, v12, v5
	v_dual_add_f32 v8, 1.0, v8 :: v_dual_add_f32 v9, 1.0, v9
	s_delay_alu instid0(VALU_DEP_4) | instskip(NEXT) | instid1(VALU_DEP_4)
	v_mul_f32_e64 v17, -v13, s21
	v_mul_f32_e64 v18, -v14, s21
	s_delay_alu instid0(VALU_DEP_4) | instskip(NEXT) | instid1(VALU_DEP_4)
	v_mul_f32_e64 v16, -v12, s21
	v_mul_f32_e32 v8, v12, v8
	v_mul_f32_e64 v19, -v15, s21
	v_mul_f32_e32 v9, v13, v9
	v_dual_mul_f32 v13, 0x3fb8aa3b, v17 :: v_dual_mul_f32 v10, v14, v10
	v_mul_f32_e32 v12, 0x3fb8aa3b, v16
	v_dual_mul_f32 v14, 0x3fb8aa3b, v18 :: v_dual_mul_f32 v11, v15, v11
	s_delay_alu instid0(VALU_DEP_3) | instskip(SKIP_1) | instid1(VALU_DEP_4)
	v_fma_f32 v22, 0x3fb8aa3b, v17, -v13
	v_rndne_f32_e32 v23, v13
	v_fma_f32 v20, 0x3fb8aa3b, v16, -v12
	v_rndne_f32_e32 v21, v12
	v_mul_f32_e32 v15, 0x3fb8aa3b, v19
	v_rndne_f32_e32 v25, v14
	s_delay_alu instid0(VALU_DEP_4) | instskip(NEXT) | instid1(VALU_DEP_4)
	v_dual_sub_f32 v13, v13, v23 :: v_dual_fmac_f32 v20, 0x32a5705f, v16
	v_sub_f32_e32 v12, v12, v21
	s_delay_alu instid0(VALU_DEP_4)
	v_rndne_f32_e32 v27, v15
	v_fmac_f32_e32 v22, 0x32a5705f, v17
	v_fma_f32 v24, 0x3fb8aa3b, v18, -v14
	v_fma_f32 v26, 0x3fb8aa3b, v19, -v15
	v_cvt_i32_f32_e32 v23, v23
	v_dual_sub_f32 v15, v15, v27 :: v_dual_sub_f32 v14, v14, v25
	v_add_f32_e32 v13, v13, v22
	v_cmp_ngt_f32_e32 vcc_lo, 0xc2ce8ed0, v17
	v_cvt_i32_f32_e32 v21, v21
	v_cvt_i32_f32_e32 v25, v25
	;; [unrolled: 1-line block ×3, first 2 shown]
	v_exp_f32_e32 v13, v13
	v_cmp_ngt_f32_e64 s3, 0xc2ce8ed0, v18
	v_cmp_ngt_f32_e64 s4, 0xc2ce8ed0, v19
	;; [unrolled: 1-line block ×3, first 2 shown]
	v_cmp_le_u32_e64 s2, s7, v7
	s_delay_alu instid0(VALU_DEP_1) | instskip(SKIP_2) | instid1(VALU_DEP_1)
	s_or_b32 s8, s2, s8
	s_waitcnt_depctr 0xfff
	v_ldexp_f32 v13, v13, v23
	v_dual_fmac_f32 v24, 0x32a5705f, v18 :: v_dual_cndmask_b32 v13, 0, v13
	v_cmp_nlt_f32_e32 vcc_lo, 0x42b17218, v17
	s_delay_alu instid0(VALU_DEP_2) | instskip(SKIP_1) | instid1(VALU_DEP_2)
	v_dual_add_f32 v14, v14, v24 :: v_dual_cndmask_b32 v13, 0x7f800000, v13
	v_fmac_f32_e32 v26, 0x32a5705f, v19
	v_exp_f32_e32 v14, v14
	s_delay_alu instid0(VALU_DEP_2) | instskip(NEXT) | instid1(VALU_DEP_2)
	v_dual_add_f32 v13, 1.0, v13 :: v_dual_add_f32 v12, v12, v20
	v_add_f32_e32 v15, v15, v26
	s_delay_alu instid0(VALU_DEP_2) | instskip(NEXT) | instid1(VALU_DEP_1)
	v_exp_f32_e32 v12, v12
	v_exp_f32_e32 v15, v15
	s_delay_alu instid0(TRANS32_DEP_3) | instskip(NEXT) | instid1(VALU_DEP_1)
	v_ldexp_f32 v14, v14, v25
	v_cndmask_b32_e64 v14, 0, v14, s3
	v_cmp_nlt_f32_e64 s3, 0x42b17218, v18
	v_div_scale_f32 v18, null, v13, v13, v9
	s_waitcnt_depctr 0xfff
	v_ldexp_f32 v12, v12, v21
	v_ldexp_f32 v15, v15, v27
	v_cndmask_b32_e64 v14, 0x7f800000, v14, s3
	v_rcp_f32_e32 v25, v18
	s_delay_alu instid0(VALU_DEP_3) | instskip(NEXT) | instid1(VALU_DEP_3)
	v_cndmask_b32_e64 v12, 0, v12, s5
	v_cndmask_b32_e64 v15, 0, v15, s4
	v_cmp_nlt_f32_e64 s4, 0x42b17218, v19
	v_cmp_nlt_f32_e64 s5, 0x42b17218, v16
	v_div_scale_f32 v19, s3, v9, v13, v9
	s_delay_alu instid0(VALU_DEP_3) | instskip(NEXT) | instid1(VALU_DEP_3)
	v_cndmask_b32_e64 v15, 0x7f800000, v15, s4
	v_cndmask_b32_e64 v12, 0x7f800000, v12, s5
	s_delay_alu instid0(TRANS32_DEP_1) | instskip(NEXT) | instid1(VALU_DEP_3)
	v_fma_f32 v29, -v18, v25, 1.0
	v_dual_add_f32 v14, 1.0, v14 :: v_dual_add_f32 v15, 1.0, v15
	s_delay_alu instid0(VALU_DEP_2) | instskip(NEXT) | instid1(VALU_DEP_2)
	v_dual_add_f32 v12, 1.0, v12 :: v_dual_fmac_f32 v25, v29, v25
	v_div_scale_f32 v20, null, v14, v14, v10
	s_delay_alu instid0(VALU_DEP_3) | instskip(NEXT) | instid1(VALU_DEP_3)
	v_div_scale_f32 v22, null, v15, v15, v11
	v_div_scale_f32 v16, null, v12, v12, v8
	s_delay_alu instid0(VALU_DEP_3) | instskip(NEXT) | instid1(VALU_DEP_2)
	v_rcp_f32_e32 v26, v20
	v_rcp_f32_e32 v27, v22
	v_div_scale_f32 v17, vcc_lo, v8, v12, v8
	s_delay_alu instid0(VALU_DEP_2) | instskip(SKIP_3) | instid1(TRANS32_DEP_3)
	v_rcp_f32_e32 v24, v16
	v_div_scale_f32 v23, s5, v11, v15, v11
	v_div_scale_f32 v21, s4, v10, v14, v10
	v_mul_f32_e32 v29, v19, v25
	v_fma_f32 v30, -v20, v26, 1.0
	s_delay_alu instid0(TRANS32_DEP_2) | instskip(SKIP_4) | instid1(VALU_DEP_2)
	v_fma_f32 v31, -v22, v27, 1.0
	s_waitcnt_depctr 0xfff
	v_fma_f32 v28, -v16, v24, 1.0
	v_dual_fmac_f32 v26, v30, v26 :: v_dual_fmac_f32 v27, v31, v27
	v_fma_f32 v33, -v18, v29, v19
	v_dual_fmac_f32 v24, v28, v24 :: v_dual_mul_f32 v31, v23, v27
	s_delay_alu instid0(VALU_DEP_2) | instskip(NEXT) | instid1(VALU_DEP_2)
	v_fmac_f32_e32 v29, v33, v25
	v_mul_f32_e32 v28, v17, v24
	s_delay_alu instid0(VALU_DEP_3) | instskip(SKIP_1) | instid1(VALU_DEP_3)
	v_fma_f32 v35, -v22, v31, v23
	v_mul_f32_e32 v30, v21, v26
	v_fma_f32 v32, -v16, v28, v17
	s_delay_alu instid0(VALU_DEP_3) | instskip(NEXT) | instid1(VALU_DEP_3)
	v_fmac_f32_e32 v31, v35, v27
	v_fma_f32 v34, -v20, v30, v21
	s_delay_alu instid0(VALU_DEP_3) | instskip(NEXT) | instid1(VALU_DEP_2)
	v_fmac_f32_e32 v28, v32, v24
	v_fmac_f32_e32 v30, v34, v26
	s_delay_alu instid0(VALU_DEP_2) | instskip(SKIP_2) | instid1(VALU_DEP_4)
	v_fma_f32 v16, -v16, v28, v17
	v_fma_f32 v17, -v18, v29, v19
	;; [unrolled: 1-line block ×4, first 2 shown]
	s_delay_alu instid0(VALU_DEP_4) | instskip(SKIP_3) | instid1(VALU_DEP_2)
	v_div_fmas_f32 v16, v16, v24, v28
	s_mov_b32 vcc_lo, s3
	v_div_fmas_f32 v17, v17, v25, v29
	s_mov_b32 vcc_lo, s4
	v_div_fixup_f32 v8, v16, v12, v8
	v_div_fmas_f32 v18, v18, v26, v30
	s_mov_b32 vcc_lo, s5
	v_div_fixup_f32 v9, v17, v13, v9
	v_div_fmas_f32 v12, v19, v27, v31
	v_bfe_u32 v13, v8, 16, 1
	v_div_fixup_f32 v10, v18, v14, v10
	v_cmp_o_f32_e32 vcc_lo, v8, v8
	v_cmp_o_f32_e64 s3, v9, v9
	v_div_fixup_f32 v11, v12, v15, v11
	v_bfe_u32 v12, v9, 16, 1
	v_bfe_u32 v14, v10, 16, 1
	v_add3_u32 v13, v8, v13, 0x7fff
	v_cmp_o_f32_e64 s4, v10, v10
	v_bfe_u32 v15, v11, 16, 1
	v_add3_u32 v12, v9, v12, 0x7fff
	v_add3_u32 v14, v10, v14, 0x7fff
	v_lshrrev_b32_e32 v13, 16, v13
	s_delay_alu instid0(VALU_DEP_4) | instskip(NEXT) | instid1(VALU_DEP_4)
	v_add3_u32 v8, v11, v15, 0x7fff
	v_and_b32_e32 v12, 0xffff0000, v12
	s_delay_alu instid0(VALU_DEP_4) | instskip(NEXT) | instid1(VALU_DEP_4)
	v_lshrrev_b32_e32 v9, 16, v14
	v_cndmask_b32_e32 v10, 0x7fc0, v13, vcc_lo
	v_cmp_o_f32_e32 vcc_lo, v11, v11
	v_and_b32_e32 v8, 0xffff0000, v8
	v_cndmask_b32_e64 v11, 0x7fc00000, v12, s3
	v_cndmask_b32_e64 v9, 0x7fc0, v9, s4
	s_delay_alu instid0(VALU_DEP_3) | instskip(NEXT) | instid1(VALU_DEP_3)
	v_cndmask_b32_e32 v12, 0x7fc00000, v8, vcc_lo
	v_or3_b32 v8, 0, v11, v10
	s_delay_alu instid0(VALU_DEP_2) | instskip(NEXT) | instid1(VALU_DEP_1)
	v_or_b32_e32 v9, v12, v9
	v_or3_b32 v9, v9, 0, 0
	global_store_b64 v[1:2], v[8:9], off
	v_add_co_u32 v1, vcc_lo, v1, s10
	v_add_co_ci_u32_e32 v2, vcc_lo, 0, v2, vcc_lo
	s_and_not1_b32 exec_lo, exec_lo, s8
	s_cbranch_execnz .LBB58_21
.LBB58_22:
	s_or_b32 exec_lo, exec_lo, s12
	s_and_b32 s2, s6, 0x7ffffffc
	s_delay_alu instid0(SALU_CYCLE_1) | instskip(SKIP_1) | instid1(VALU_DEP_1)
	v_add_nc_u32_e32 v1, s2, v0
	s_mov_b32 s2, exec_lo
	v_cmpx_gt_i32_e64 s6, v1
	s_cbranch_execz .LBB58_25
; %bb.23:
	s_load_b32 s0, s[0:1], 0x2c
	s_lshl_b32 s1, s6, 1
	s_mov_b32 s3, 0
	s_and_b32 s1, s1, -8
	s_delay_alu instid0(SALU_CYCLE_1) | instskip(SKIP_2) | instid1(SALU_CYCLE_1)
	v_lshl_add_u32 v3, v0, 1, s1
	s_waitcnt lgkmcnt(0)
	s_and_b32 s1, s0, 0xffff
	s_lshl_b32 s2, s1, 1
.LBB58_24:                              ; =>This Inner Loop Header: Depth=1
	s_delay_alu instid0(VALU_DEP_1) | instskip(NEXT) | instid1(VALU_DEP_1)
	v_ashrrev_i32_e32 v4, 31, v3
	v_lshlrev_b64 v[7:8], 1, v[3:4]
	v_add_nc_u32_e32 v3, s2, v3
	s_delay_alu instid0(VALU_DEP_2) | instskip(NEXT) | instid1(VALU_DEP_3)
	v_add_co_u32 v7, vcc_lo, s14, v7
	v_add_co_ci_u32_e32 v8, vcc_lo, s15, v8, vcc_lo
	global_load_b32 v0, v[7:8], off
	s_waitcnt vmcnt(0)
	v_lshlrev_b32_e32 v2, 16, v0
	v_and_b32_e32 v0, 0xffff0000, v0
	s_delay_alu instid0(VALU_DEP_2) | instskip(NEXT) | instid1(VALU_DEP_2)
	v_max_f32_e32 v2, v2, v2
	v_max_f32_e32 v0, v0, v0
	s_delay_alu instid0(VALU_DEP_2) | instskip(NEXT) | instid1(VALU_DEP_2)
	v_min_f32_e32 v2, v2, v5
	v_minmax_f32 v0, v0, v5, v6
	s_delay_alu instid0(VALU_DEP_2) | instskip(NEXT) | instid1(VALU_DEP_2)
	v_mul_f32_e64 v4, -v2, s21
	v_add_f32_e32 v0, 1.0, v0
	s_delay_alu instid0(VALU_DEP_2) | instskip(SKIP_1) | instid1(VALU_DEP_2)
	v_mul_f32_e32 v7, 0x3fb8aa3b, v4
	v_cmp_ngt_f32_e32 vcc_lo, 0xc2ce8ed0, v4
	v_fma_f32 v8, 0x3fb8aa3b, v4, -v7
	v_rndne_f32_e32 v9, v7
	s_delay_alu instid0(VALU_DEP_1) | instskip(NEXT) | instid1(VALU_DEP_1)
	v_dual_fmac_f32 v8, 0x32a5705f, v4 :: v_dual_sub_f32 v7, v7, v9
	v_add_f32_e32 v7, v7, v8
	v_cvt_i32_f32_e32 v8, v9
	v_mul_f32_e32 v0, v2, v0
	s_delay_alu instid0(VALU_DEP_3) | instskip(SKIP_2) | instid1(VALU_DEP_1)
	v_exp_f32_e32 v7, v7
	s_waitcnt_depctr 0xfff
	v_ldexp_f32 v7, v7, v8
	v_cndmask_b32_e32 v7, 0, v7, vcc_lo
	v_cmp_nlt_f32_e32 vcc_lo, 0x42b17218, v4
	s_delay_alu instid0(VALU_DEP_2) | instskip(NEXT) | instid1(VALU_DEP_1)
	v_cndmask_b32_e32 v4, 0x7f800000, v7, vcc_lo
	v_add_f32_e32 v2, 1.0, v4
	s_delay_alu instid0(VALU_DEP_1) | instskip(SKIP_1) | instid1(VALU_DEP_2)
	v_div_scale_f32 v4, null, v2, v2, v0
	v_div_scale_f32 v9, vcc_lo, v0, v2, v0
	v_rcp_f32_e32 v7, v4
	s_waitcnt_depctr 0xfff
	v_fma_f32 v8, -v4, v7, 1.0
	s_delay_alu instid0(VALU_DEP_1) | instskip(NEXT) | instid1(VALU_DEP_1)
	v_fmac_f32_e32 v7, v8, v7
	v_mul_f32_e32 v8, v9, v7
	s_delay_alu instid0(VALU_DEP_1) | instskip(NEXT) | instid1(VALU_DEP_1)
	v_fma_f32 v10, -v4, v8, v9
	v_fmac_f32_e32 v8, v10, v7
	s_delay_alu instid0(VALU_DEP_1) | instskip(NEXT) | instid1(VALU_DEP_1)
	v_fma_f32 v4, -v4, v8, v9
	v_div_fmas_f32 v4, v4, v7, v8
	s_delay_alu instid0(VALU_DEP_1) | instskip(SKIP_1) | instid1(VALU_DEP_2)
	v_div_fixup_f32 v0, v4, v2, v0
	v_ashrrev_i32_e32 v2, 31, v1
	v_bfe_u32 v4, v0, 16, 1
	s_delay_alu instid0(VALU_DEP_2) | instskip(SKIP_2) | instid1(VALU_DEP_4)
	v_lshlrev_b64 v[7:8], 1, v[1:2]
	v_add_nc_u32_e32 v1, s1, v1
	v_cmp_o_f32_e64 s0, v0, v0
	v_add3_u32 v4, v0, v4, 0x7fff
	s_delay_alu instid0(VALU_DEP_3) | instskip(NEXT) | instid1(VALU_DEP_2)
	v_cmp_le_i32_e32 vcc_lo, s6, v1
	v_lshrrev_b32_e32 v2, 16, v4
	s_or_b32 s3, vcc_lo, s3
	s_delay_alu instid0(VALU_DEP_1) | instskip(SKIP_1) | instid1(VALU_DEP_1)
	v_cndmask_b32_e64 v0, 0x7fc0, v2, s0
	v_add_co_u32 v7, s0, s23, v7
	v_add_co_ci_u32_e64 v8, s0, s24, v8, s0
	global_store_b16 v[7:8], v0, off
	s_and_not1_b32 exec_lo, exec_lo, s3
	s_cbranch_execnz .LBB58_24
.LBB58_25:
	s_nop 0
	s_sendmsg sendmsg(MSG_DEALLOC_VGPRS)
	s_endpgm
	.section	.rodata,"a",@progbits
	.p2align	6, 0x0
	.amdhsa_kernel _ZN4vllm24swigluoai_and_mul_kernelIN3c108BFloat16ETnPFT_RKS3_S5_ffEXadL_ZNS_17swigluoai_and_mulIS2_EES3_S5_S5_ffEEEEvPS3_PS4_iff
		.amdhsa_group_segment_fixed_size 0
		.amdhsa_private_segment_fixed_size 0
		.amdhsa_kernarg_size 288
		.amdhsa_user_sgpr_count 15
		.amdhsa_user_sgpr_dispatch_ptr 0
		.amdhsa_user_sgpr_queue_ptr 0
		.amdhsa_user_sgpr_kernarg_segment_ptr 1
		.amdhsa_user_sgpr_dispatch_id 0
		.amdhsa_user_sgpr_private_segment_size 0
		.amdhsa_wavefront_size32 1
		.amdhsa_uses_dynamic_stack 0
		.amdhsa_enable_private_segment 0
		.amdhsa_system_sgpr_workgroup_id_x 1
		.amdhsa_system_sgpr_workgroup_id_y 0
		.amdhsa_system_sgpr_workgroup_id_z 0
		.amdhsa_system_sgpr_workgroup_info 0
		.amdhsa_system_vgpr_workitem_id 0
		.amdhsa_next_free_vgpr 36
		.amdhsa_next_free_sgpr 29
		.amdhsa_reserve_vcc 1
		.amdhsa_float_round_mode_32 0
		.amdhsa_float_round_mode_16_64 0
		.amdhsa_float_denorm_mode_32 3
		.amdhsa_float_denorm_mode_16_64 3
		.amdhsa_dx10_clamp 1
		.amdhsa_ieee_mode 1
		.amdhsa_fp16_overflow 0
		.amdhsa_workgroup_processor_mode 1
		.amdhsa_memory_ordered 1
		.amdhsa_forward_progress 0
		.amdhsa_shared_vgpr_count 0
		.amdhsa_exception_fp_ieee_invalid_op 0
		.amdhsa_exception_fp_denorm_src 0
		.amdhsa_exception_fp_ieee_div_zero 0
		.amdhsa_exception_fp_ieee_overflow 0
		.amdhsa_exception_fp_ieee_underflow 0
		.amdhsa_exception_fp_ieee_inexact 0
		.amdhsa_exception_int_div_zero 0
	.end_amdhsa_kernel
	.section	.text._ZN4vllm24swigluoai_and_mul_kernelIN3c108BFloat16ETnPFT_RKS3_S5_ffEXadL_ZNS_17swigluoai_and_mulIS2_EES3_S5_S5_ffEEEEvPS3_PS4_iff,"axG",@progbits,_ZN4vllm24swigluoai_and_mul_kernelIN3c108BFloat16ETnPFT_RKS3_S5_ffEXadL_ZNS_17swigluoai_and_mulIS2_EES3_S5_S5_ffEEEEvPS3_PS4_iff,comdat
.Lfunc_end58:
	.size	_ZN4vllm24swigluoai_and_mul_kernelIN3c108BFloat16ETnPFT_RKS3_S5_ffEXadL_ZNS_17swigluoai_and_mulIS2_EES3_S5_S5_ffEEEEvPS3_PS4_iff, .Lfunc_end58-_ZN4vllm24swigluoai_and_mul_kernelIN3c108BFloat16ETnPFT_RKS3_S5_ffEXadL_ZNS_17swigluoai_and_mulIS2_EES3_S5_S5_ffEEEEvPS3_PS4_iff
                                        ; -- End function
	.section	.AMDGPU.csdata,"",@progbits
; Kernel info:
; codeLenInByte = 4740
; NumSgprs: 31
; NumVgprs: 36
; ScratchSize: 0
; MemoryBound: 0
; FloatMode: 240
; IeeeMode: 1
; LDSByteSize: 0 bytes/workgroup (compile time only)
; SGPRBlocks: 3
; VGPRBlocks: 4
; NumSGPRsForWavesPerEU: 31
; NumVGPRsForWavesPerEU: 36
; Occupancy: 16
; WaveLimiterHint : 0
; COMPUTE_PGM_RSRC2:SCRATCH_EN: 0
; COMPUTE_PGM_RSRC2:USER_SGPR: 15
; COMPUTE_PGM_RSRC2:TRAP_HANDLER: 0
; COMPUTE_PGM_RSRC2:TGID_X_EN: 1
; COMPUTE_PGM_RSRC2:TGID_Y_EN: 0
; COMPUTE_PGM_RSRC2:TGID_Z_EN: 0
; COMPUTE_PGM_RSRC2:TIDIG_COMP_CNT: 0
	.section	.text._ZN4vllm17activation_kernelIfTnPFT_RKS1_EXadL_ZNS_15gelu_new_kernelIfEES1_S3_EELb1ELb1EEEvPS1_PS2_i,"axG",@progbits,_ZN4vllm17activation_kernelIfTnPFT_RKS1_EXadL_ZNS_15gelu_new_kernelIfEES1_S3_EELb1ELb1EEEvPS1_PS2_i,comdat
	.protected	_ZN4vllm17activation_kernelIfTnPFT_RKS1_EXadL_ZNS_15gelu_new_kernelIfEES1_S3_EELb1ELb1EEEvPS1_PS2_i ; -- Begin function _ZN4vllm17activation_kernelIfTnPFT_RKS1_EXadL_ZNS_15gelu_new_kernelIfEES1_S3_EELb1ELb1EEEvPS1_PS2_i
	.globl	_ZN4vllm17activation_kernelIfTnPFT_RKS1_EXadL_ZNS_15gelu_new_kernelIfEES1_S3_EELb1ELb1EEEvPS1_PS2_i
	.p2align	8
	.type	_ZN4vllm17activation_kernelIfTnPFT_RKS1_EXadL_ZNS_15gelu_new_kernelIfEES1_S3_EELb1ELb1EEEvPS1_PS2_i,@function
_ZN4vllm17activation_kernelIfTnPFT_RKS1_EXadL_ZNS_15gelu_new_kernelIfEES1_S3_EELb1ELb1EEEvPS1_PS2_i: ; @_ZN4vllm17activation_kernelIfTnPFT_RKS1_EXadL_ZNS_15gelu_new_kernelIfEES1_S3_EELb1ELb1EEEvPS1_PS2_i
; %bb.0:
	s_load_b32 s2, s[0:1], 0x10
	s_mov_b32 s32, 0
	s_waitcnt lgkmcnt(0)
	s_ashr_i32 s3, s2, 31
	s_delay_alu instid0(SALU_CYCLE_1) | instskip(NEXT) | instid1(SALU_CYCLE_1)
	s_lshr_b32 s3, s3, 29
	s_add_i32 s2, s2, s3
	s_delay_alu instid0(SALU_CYCLE_1) | instskip(NEXT) | instid1(SALU_CYCLE_1)
	s_ashr_i32 s2, s2, 3
	v_cmp_gt_i32_e32 vcc_lo, s2, v0
	s_and_saveexec_b32 s2, vcc_lo
	s_cbranch_execz .LBB59_2
; %bb.1:
	s_add_u32 s8, s0, 24
	s_addc_u32 s9, s1, 0
	s_getpc_b64 s[0:1]
	s_add_u32 s0, s0, .str@rel32@lo+4
	s_addc_u32 s1, s1, .str@rel32@hi+12
	s_getpc_b64 s[2:3]
	s_add_u32 s2, s2, __PRETTY_FUNCTION__._ZN4vllm5ld256ERNS_7u32x8_tEPKS0_@rel32@lo+4
	s_addc_u32 s3, s3, __PRETTY_FUNCTION__._ZN4vllm5ld256ERNS_7u32x8_tEPKS0_@rel32@hi+12
	v_dual_mov_b32 v0, s0 :: v_dual_mov_b32 v1, s1
	v_dual_mov_b32 v2, 0x93 :: v_dual_mov_b32 v3, s2
	v_mov_b32_e32 v4, s3
	s_getpc_b64 s[4:5]
	s_add_u32 s4, s4, __assert_fail@rel32@lo+4
	s_addc_u32 s5, s5, __assert_fail@rel32@hi+12
	s_delay_alu instid0(SALU_CYCLE_1)
	s_swappc_b64 s[30:31], s[4:5]
	; divergent unreachable
.LBB59_2:
	s_endpgm
	.section	.rodata,"a",@progbits
	.p2align	6, 0x0
	.amdhsa_kernel _ZN4vllm17activation_kernelIfTnPFT_RKS1_EXadL_ZNS_15gelu_new_kernelIfEES1_S3_EELb1ELb1EEEvPS1_PS2_i
		.amdhsa_group_segment_fixed_size 0
		.amdhsa_private_segment_fixed_size 64
		.amdhsa_kernarg_size 280
		.amdhsa_user_sgpr_count 15
		.amdhsa_user_sgpr_dispatch_ptr 0
		.amdhsa_user_sgpr_queue_ptr 0
		.amdhsa_user_sgpr_kernarg_segment_ptr 1
		.amdhsa_user_sgpr_dispatch_id 0
		.amdhsa_user_sgpr_private_segment_size 0
		.amdhsa_wavefront_size32 1
		.amdhsa_uses_dynamic_stack 0
		.amdhsa_enable_private_segment 1
		.amdhsa_system_sgpr_workgroup_id_x 1
		.amdhsa_system_sgpr_workgroup_id_y 0
		.amdhsa_system_sgpr_workgroup_id_z 0
		.amdhsa_system_sgpr_workgroup_info 0
		.amdhsa_system_vgpr_workitem_id 0
		.amdhsa_next_free_vgpr 51
		.amdhsa_next_free_sgpr 34
		.amdhsa_reserve_vcc 1
		.amdhsa_float_round_mode_32 0
		.amdhsa_float_round_mode_16_64 0
		.amdhsa_float_denorm_mode_32 3
		.amdhsa_float_denorm_mode_16_64 3
		.amdhsa_dx10_clamp 1
		.amdhsa_ieee_mode 1
		.amdhsa_fp16_overflow 0
		.amdhsa_workgroup_processor_mode 1
		.amdhsa_memory_ordered 1
		.amdhsa_forward_progress 0
		.amdhsa_shared_vgpr_count 0
		.amdhsa_exception_fp_ieee_invalid_op 0
		.amdhsa_exception_fp_denorm_src 0
		.amdhsa_exception_fp_ieee_div_zero 0
		.amdhsa_exception_fp_ieee_overflow 0
		.amdhsa_exception_fp_ieee_underflow 0
		.amdhsa_exception_fp_ieee_inexact 0
		.amdhsa_exception_int_div_zero 0
	.end_amdhsa_kernel
	.section	.text._ZN4vllm17activation_kernelIfTnPFT_RKS1_EXadL_ZNS_15gelu_new_kernelIfEES1_S3_EELb1ELb1EEEvPS1_PS2_i,"axG",@progbits,_ZN4vllm17activation_kernelIfTnPFT_RKS1_EXadL_ZNS_15gelu_new_kernelIfEES1_S3_EELb1ELb1EEEvPS1_PS2_i,comdat
.Lfunc_end59:
	.size	_ZN4vllm17activation_kernelIfTnPFT_RKS1_EXadL_ZNS_15gelu_new_kernelIfEES1_S3_EELb1ELb1EEEvPS1_PS2_i, .Lfunc_end59-_ZN4vllm17activation_kernelIfTnPFT_RKS1_EXadL_ZNS_15gelu_new_kernelIfEES1_S3_EELb1ELb1EEEvPS1_PS2_i
                                        ; -- End function
	.section	.AMDGPU.csdata,"",@progbits
; Kernel info:
; codeLenInByte = 156
; NumSgprs: 36
; NumVgprs: 51
; ScratchSize: 64
; MemoryBound: 0
; FloatMode: 240
; IeeeMode: 1
; LDSByteSize: 0 bytes/workgroup (compile time only)
; SGPRBlocks: 4
; VGPRBlocks: 6
; NumSGPRsForWavesPerEU: 36
; NumVGPRsForWavesPerEU: 51
; Occupancy: 16
; WaveLimiterHint : 1
; COMPUTE_PGM_RSRC2:SCRATCH_EN: 1
; COMPUTE_PGM_RSRC2:USER_SGPR: 15
; COMPUTE_PGM_RSRC2:TRAP_HANDLER: 0
; COMPUTE_PGM_RSRC2:TGID_X_EN: 1
; COMPUTE_PGM_RSRC2:TGID_Y_EN: 0
; COMPUTE_PGM_RSRC2:TGID_Z_EN: 0
; COMPUTE_PGM_RSRC2:TIDIG_COMP_CNT: 0
	.section	.text._ZN4vllm17activation_kernelIN3c104HalfETnPFT_RKS3_EXadL_ZNS_15gelu_new_kernelIS2_EES3_S5_EELb1ELb1EEEvPS3_PS4_i,"axG",@progbits,_ZN4vllm17activation_kernelIN3c104HalfETnPFT_RKS3_EXadL_ZNS_15gelu_new_kernelIS2_EES3_S5_EELb1ELb1EEEvPS3_PS4_i,comdat
	.protected	_ZN4vllm17activation_kernelIN3c104HalfETnPFT_RKS3_EXadL_ZNS_15gelu_new_kernelIS2_EES3_S5_EELb1ELb1EEEvPS3_PS4_i ; -- Begin function _ZN4vllm17activation_kernelIN3c104HalfETnPFT_RKS3_EXadL_ZNS_15gelu_new_kernelIS2_EES3_S5_EELb1ELb1EEEvPS3_PS4_i
	.globl	_ZN4vllm17activation_kernelIN3c104HalfETnPFT_RKS3_EXadL_ZNS_15gelu_new_kernelIS2_EES3_S5_EELb1ELb1EEEvPS3_PS4_i
	.p2align	8
	.type	_ZN4vllm17activation_kernelIN3c104HalfETnPFT_RKS3_EXadL_ZNS_15gelu_new_kernelIS2_EES3_S5_EELb1ELb1EEEvPS3_PS4_i,@function
_ZN4vllm17activation_kernelIN3c104HalfETnPFT_RKS3_EXadL_ZNS_15gelu_new_kernelIS2_EES3_S5_EELb1ELb1EEEvPS3_PS4_i: ; @_ZN4vllm17activation_kernelIN3c104HalfETnPFT_RKS3_EXadL_ZNS_15gelu_new_kernelIS2_EES3_S5_EELb1ELb1EEEvPS3_PS4_i
; %bb.0:
	s_load_b32 s2, s[0:1], 0x10
	s_mov_b32 s32, 0
	s_waitcnt lgkmcnt(0)
	s_ashr_i32 s3, s2, 31
	s_delay_alu instid0(SALU_CYCLE_1) | instskip(NEXT) | instid1(SALU_CYCLE_1)
	s_lshr_b32 s3, s3, 28
	s_add_i32 s2, s2, s3
	s_delay_alu instid0(SALU_CYCLE_1) | instskip(NEXT) | instid1(SALU_CYCLE_1)
	s_ashr_i32 s2, s2, 4
	v_cmp_gt_i32_e32 vcc_lo, s2, v0
	s_and_saveexec_b32 s2, vcc_lo
	s_cbranch_execz .LBB60_2
; %bb.1:
	s_add_u32 s8, s0, 24
	s_addc_u32 s9, s1, 0
	s_getpc_b64 s[0:1]
	s_add_u32 s0, s0, .str@rel32@lo+4
	s_addc_u32 s1, s1, .str@rel32@hi+12
	s_getpc_b64 s[2:3]
	s_add_u32 s2, s2, __PRETTY_FUNCTION__._ZN4vllm5ld256ERNS_7u32x8_tEPKS0_@rel32@lo+4
	s_addc_u32 s3, s3, __PRETTY_FUNCTION__._ZN4vllm5ld256ERNS_7u32x8_tEPKS0_@rel32@hi+12
	v_dual_mov_b32 v0, s0 :: v_dual_mov_b32 v1, s1
	v_dual_mov_b32 v2, 0x93 :: v_dual_mov_b32 v3, s2
	v_mov_b32_e32 v4, s3
	s_getpc_b64 s[4:5]
	s_add_u32 s4, s4, __assert_fail@rel32@lo+4
	s_addc_u32 s5, s5, __assert_fail@rel32@hi+12
	s_delay_alu instid0(SALU_CYCLE_1)
	s_swappc_b64 s[30:31], s[4:5]
	; divergent unreachable
.LBB60_2:
	s_endpgm
	.section	.rodata,"a",@progbits
	.p2align	6, 0x0
	.amdhsa_kernel _ZN4vllm17activation_kernelIN3c104HalfETnPFT_RKS3_EXadL_ZNS_15gelu_new_kernelIS2_EES3_S5_EELb1ELb1EEEvPS3_PS4_i
		.amdhsa_group_segment_fixed_size 0
		.amdhsa_private_segment_fixed_size 64
		.amdhsa_kernarg_size 280
		.amdhsa_user_sgpr_count 15
		.amdhsa_user_sgpr_dispatch_ptr 0
		.amdhsa_user_sgpr_queue_ptr 0
		.amdhsa_user_sgpr_kernarg_segment_ptr 1
		.amdhsa_user_sgpr_dispatch_id 0
		.amdhsa_user_sgpr_private_segment_size 0
		.amdhsa_wavefront_size32 1
		.amdhsa_uses_dynamic_stack 0
		.amdhsa_enable_private_segment 1
		.amdhsa_system_sgpr_workgroup_id_x 1
		.amdhsa_system_sgpr_workgroup_id_y 0
		.amdhsa_system_sgpr_workgroup_id_z 0
		.amdhsa_system_sgpr_workgroup_info 0
		.amdhsa_system_vgpr_workitem_id 0
		.amdhsa_next_free_vgpr 51
		.amdhsa_next_free_sgpr 34
		.amdhsa_reserve_vcc 1
		.amdhsa_float_round_mode_32 0
		.amdhsa_float_round_mode_16_64 0
		.amdhsa_float_denorm_mode_32 3
		.amdhsa_float_denorm_mode_16_64 3
		.amdhsa_dx10_clamp 1
		.amdhsa_ieee_mode 1
		.amdhsa_fp16_overflow 0
		.amdhsa_workgroup_processor_mode 1
		.amdhsa_memory_ordered 1
		.amdhsa_forward_progress 0
		.amdhsa_shared_vgpr_count 0
		.amdhsa_exception_fp_ieee_invalid_op 0
		.amdhsa_exception_fp_denorm_src 0
		.amdhsa_exception_fp_ieee_div_zero 0
		.amdhsa_exception_fp_ieee_overflow 0
		.amdhsa_exception_fp_ieee_underflow 0
		.amdhsa_exception_fp_ieee_inexact 0
		.amdhsa_exception_int_div_zero 0
	.end_amdhsa_kernel
	.section	.text._ZN4vllm17activation_kernelIN3c104HalfETnPFT_RKS3_EXadL_ZNS_15gelu_new_kernelIS2_EES3_S5_EELb1ELb1EEEvPS3_PS4_i,"axG",@progbits,_ZN4vllm17activation_kernelIN3c104HalfETnPFT_RKS3_EXadL_ZNS_15gelu_new_kernelIS2_EES3_S5_EELb1ELb1EEEvPS3_PS4_i,comdat
.Lfunc_end60:
	.size	_ZN4vllm17activation_kernelIN3c104HalfETnPFT_RKS3_EXadL_ZNS_15gelu_new_kernelIS2_EES3_S5_EELb1ELb1EEEvPS3_PS4_i, .Lfunc_end60-_ZN4vllm17activation_kernelIN3c104HalfETnPFT_RKS3_EXadL_ZNS_15gelu_new_kernelIS2_EES3_S5_EELb1ELb1EEEvPS3_PS4_i
                                        ; -- End function
	.section	.AMDGPU.csdata,"",@progbits
; Kernel info:
; codeLenInByte = 156
; NumSgprs: 36
; NumVgprs: 51
; ScratchSize: 64
; MemoryBound: 0
; FloatMode: 240
; IeeeMode: 1
; LDSByteSize: 0 bytes/workgroup (compile time only)
; SGPRBlocks: 4
; VGPRBlocks: 6
; NumSGPRsForWavesPerEU: 36
; NumVGPRsForWavesPerEU: 51
; Occupancy: 16
; WaveLimiterHint : 1
; COMPUTE_PGM_RSRC2:SCRATCH_EN: 1
; COMPUTE_PGM_RSRC2:USER_SGPR: 15
; COMPUTE_PGM_RSRC2:TRAP_HANDLER: 0
; COMPUTE_PGM_RSRC2:TGID_X_EN: 1
; COMPUTE_PGM_RSRC2:TGID_Y_EN: 0
; COMPUTE_PGM_RSRC2:TGID_Z_EN: 0
; COMPUTE_PGM_RSRC2:TIDIG_COMP_CNT: 0
	.section	.text._ZN4vllm17activation_kernelIN3c108BFloat16ETnPFT_RKS3_EXadL_ZNS_15gelu_new_kernelIS2_EES3_S5_EELb1ELb1EEEvPS3_PS4_i,"axG",@progbits,_ZN4vllm17activation_kernelIN3c108BFloat16ETnPFT_RKS3_EXadL_ZNS_15gelu_new_kernelIS2_EES3_S5_EELb1ELb1EEEvPS3_PS4_i,comdat
	.protected	_ZN4vllm17activation_kernelIN3c108BFloat16ETnPFT_RKS3_EXadL_ZNS_15gelu_new_kernelIS2_EES3_S5_EELb1ELb1EEEvPS3_PS4_i ; -- Begin function _ZN4vllm17activation_kernelIN3c108BFloat16ETnPFT_RKS3_EXadL_ZNS_15gelu_new_kernelIS2_EES3_S5_EELb1ELb1EEEvPS3_PS4_i
	.globl	_ZN4vllm17activation_kernelIN3c108BFloat16ETnPFT_RKS3_EXadL_ZNS_15gelu_new_kernelIS2_EES3_S5_EELb1ELb1EEEvPS3_PS4_i
	.p2align	8
	.type	_ZN4vllm17activation_kernelIN3c108BFloat16ETnPFT_RKS3_EXadL_ZNS_15gelu_new_kernelIS2_EES3_S5_EELb1ELb1EEEvPS3_PS4_i,@function
_ZN4vllm17activation_kernelIN3c108BFloat16ETnPFT_RKS3_EXadL_ZNS_15gelu_new_kernelIS2_EES3_S5_EELb1ELb1EEEvPS3_PS4_i: ; @_ZN4vllm17activation_kernelIN3c108BFloat16ETnPFT_RKS3_EXadL_ZNS_15gelu_new_kernelIS2_EES3_S5_EELb1ELb1EEEvPS3_PS4_i
; %bb.0:
	s_load_b32 s2, s[0:1], 0x10
	s_mov_b32 s32, 0
	s_waitcnt lgkmcnt(0)
	s_ashr_i32 s3, s2, 31
	s_delay_alu instid0(SALU_CYCLE_1) | instskip(NEXT) | instid1(SALU_CYCLE_1)
	s_lshr_b32 s3, s3, 28
	s_add_i32 s2, s2, s3
	s_delay_alu instid0(SALU_CYCLE_1) | instskip(NEXT) | instid1(SALU_CYCLE_1)
	s_ashr_i32 s2, s2, 4
	v_cmp_gt_i32_e32 vcc_lo, s2, v0
	s_and_saveexec_b32 s2, vcc_lo
	s_cbranch_execz .LBB61_2
; %bb.1:
	s_add_u32 s8, s0, 24
	s_addc_u32 s9, s1, 0
	s_getpc_b64 s[0:1]
	s_add_u32 s0, s0, .str@rel32@lo+4
	s_addc_u32 s1, s1, .str@rel32@hi+12
	s_getpc_b64 s[2:3]
	s_add_u32 s2, s2, __PRETTY_FUNCTION__._ZN4vllm5ld256ERNS_7u32x8_tEPKS0_@rel32@lo+4
	s_addc_u32 s3, s3, __PRETTY_FUNCTION__._ZN4vllm5ld256ERNS_7u32x8_tEPKS0_@rel32@hi+12
	v_dual_mov_b32 v0, s0 :: v_dual_mov_b32 v1, s1
	v_dual_mov_b32 v2, 0x93 :: v_dual_mov_b32 v3, s2
	v_mov_b32_e32 v4, s3
	s_getpc_b64 s[4:5]
	s_add_u32 s4, s4, __assert_fail@rel32@lo+4
	s_addc_u32 s5, s5, __assert_fail@rel32@hi+12
	s_delay_alu instid0(SALU_CYCLE_1)
	s_swappc_b64 s[30:31], s[4:5]
	; divergent unreachable
.LBB61_2:
	s_endpgm
	.section	.rodata,"a",@progbits
	.p2align	6, 0x0
	.amdhsa_kernel _ZN4vllm17activation_kernelIN3c108BFloat16ETnPFT_RKS3_EXadL_ZNS_15gelu_new_kernelIS2_EES3_S5_EELb1ELb1EEEvPS3_PS4_i
		.amdhsa_group_segment_fixed_size 0
		.amdhsa_private_segment_fixed_size 64
		.amdhsa_kernarg_size 280
		.amdhsa_user_sgpr_count 15
		.amdhsa_user_sgpr_dispatch_ptr 0
		.amdhsa_user_sgpr_queue_ptr 0
		.amdhsa_user_sgpr_kernarg_segment_ptr 1
		.amdhsa_user_sgpr_dispatch_id 0
		.amdhsa_user_sgpr_private_segment_size 0
		.amdhsa_wavefront_size32 1
		.amdhsa_uses_dynamic_stack 0
		.amdhsa_enable_private_segment 1
		.amdhsa_system_sgpr_workgroup_id_x 1
		.amdhsa_system_sgpr_workgroup_id_y 0
		.amdhsa_system_sgpr_workgroup_id_z 0
		.amdhsa_system_sgpr_workgroup_info 0
		.amdhsa_system_vgpr_workitem_id 0
		.amdhsa_next_free_vgpr 51
		.amdhsa_next_free_sgpr 34
		.amdhsa_reserve_vcc 1
		.amdhsa_float_round_mode_32 0
		.amdhsa_float_round_mode_16_64 0
		.amdhsa_float_denorm_mode_32 3
		.amdhsa_float_denorm_mode_16_64 3
		.amdhsa_dx10_clamp 1
		.amdhsa_ieee_mode 1
		.amdhsa_fp16_overflow 0
		.amdhsa_workgroup_processor_mode 1
		.amdhsa_memory_ordered 1
		.amdhsa_forward_progress 0
		.amdhsa_shared_vgpr_count 0
		.amdhsa_exception_fp_ieee_invalid_op 0
		.amdhsa_exception_fp_denorm_src 0
		.amdhsa_exception_fp_ieee_div_zero 0
		.amdhsa_exception_fp_ieee_overflow 0
		.amdhsa_exception_fp_ieee_underflow 0
		.amdhsa_exception_fp_ieee_inexact 0
		.amdhsa_exception_int_div_zero 0
	.end_amdhsa_kernel
	.section	.text._ZN4vllm17activation_kernelIN3c108BFloat16ETnPFT_RKS3_EXadL_ZNS_15gelu_new_kernelIS2_EES3_S5_EELb1ELb1EEEvPS3_PS4_i,"axG",@progbits,_ZN4vllm17activation_kernelIN3c108BFloat16ETnPFT_RKS3_EXadL_ZNS_15gelu_new_kernelIS2_EES3_S5_EELb1ELb1EEEvPS3_PS4_i,comdat
.Lfunc_end61:
	.size	_ZN4vllm17activation_kernelIN3c108BFloat16ETnPFT_RKS3_EXadL_ZNS_15gelu_new_kernelIS2_EES3_S5_EELb1ELb1EEEvPS3_PS4_i, .Lfunc_end61-_ZN4vllm17activation_kernelIN3c108BFloat16ETnPFT_RKS3_EXadL_ZNS_15gelu_new_kernelIS2_EES3_S5_EELb1ELb1EEEvPS3_PS4_i
                                        ; -- End function
	.section	.AMDGPU.csdata,"",@progbits
; Kernel info:
; codeLenInByte = 156
; NumSgprs: 36
; NumVgprs: 51
; ScratchSize: 64
; MemoryBound: 0
; FloatMode: 240
; IeeeMode: 1
; LDSByteSize: 0 bytes/workgroup (compile time only)
; SGPRBlocks: 4
; VGPRBlocks: 6
; NumSGPRsForWavesPerEU: 36
; NumVGPRsForWavesPerEU: 51
; Occupancy: 16
; WaveLimiterHint : 1
; COMPUTE_PGM_RSRC2:SCRATCH_EN: 1
; COMPUTE_PGM_RSRC2:USER_SGPR: 15
; COMPUTE_PGM_RSRC2:TRAP_HANDLER: 0
; COMPUTE_PGM_RSRC2:TGID_X_EN: 1
; COMPUTE_PGM_RSRC2:TGID_Y_EN: 0
; COMPUTE_PGM_RSRC2:TGID_Z_EN: 0
; COMPUTE_PGM_RSRC2:TIDIG_COMP_CNT: 0
	.section	.text._ZN4vllm17activation_kernelIfTnPFT_RKS1_EXadL_ZNS_15gelu_new_kernelIfEES1_S3_EELb1ELb0EEEvPS1_PS2_i,"axG",@progbits,_ZN4vllm17activation_kernelIfTnPFT_RKS1_EXadL_ZNS_15gelu_new_kernelIfEES1_S3_EELb1ELb0EEEvPS1_PS2_i,comdat
	.protected	_ZN4vllm17activation_kernelIfTnPFT_RKS1_EXadL_ZNS_15gelu_new_kernelIfEES1_S3_EELb1ELb0EEEvPS1_PS2_i ; -- Begin function _ZN4vllm17activation_kernelIfTnPFT_RKS1_EXadL_ZNS_15gelu_new_kernelIfEES1_S3_EELb1ELb0EEEvPS1_PS2_i
	.globl	_ZN4vllm17activation_kernelIfTnPFT_RKS1_EXadL_ZNS_15gelu_new_kernelIfEES1_S3_EELb1ELb0EEEvPS1_PS2_i
	.p2align	8
	.type	_ZN4vllm17activation_kernelIfTnPFT_RKS1_EXadL_ZNS_15gelu_new_kernelIfEES1_S3_EELb1ELb0EEEvPS1_PS2_i,@function
_ZN4vllm17activation_kernelIfTnPFT_RKS1_EXadL_ZNS_15gelu_new_kernelIfEES1_S3_EELb1ELb0EEEvPS1_PS2_i: ; @_ZN4vllm17activation_kernelIfTnPFT_RKS1_EXadL_ZNS_15gelu_new_kernelIfEES1_S3_EELb1ELb0EEEvPS1_PS2_i
; %bb.0:
	s_load_b32 s3, s[0:1], 0x10
	s_mov_b32 s4, exec_lo
	s_waitcnt lgkmcnt(0)
	s_ashr_i32 s2, s3, 31
	s_delay_alu instid0(SALU_CYCLE_1) | instskip(NEXT) | instid1(SALU_CYCLE_1)
	s_lshr_b32 s2, s2, 30
	s_add_i32 s2, s3, s2
	s_delay_alu instid0(SALU_CYCLE_1) | instskip(NEXT) | instid1(SALU_CYCLE_1)
	s_ashr_i32 s2, s2, 2
	v_cmpx_gt_i32_e64 s2, v0
	s_cbranch_execz .LBB62_19
; %bb.1:
	s_clause 0x1
	s_load_b32 s10, s[0:1], 0x24
	s_load_b128 s[4:7], s[0:1], 0x0
	v_lshlrev_b32_e32 v1, 4, v0
	s_mul_i32 s0, s15, s3
	s_mov_b32 s1, 0
	s_delay_alu instid0(SALU_CYCLE_1)
	s_lshl_b64 s[8:9], s[0:1], 2
	s_delay_alu instid0(VALU_DEP_1) | instid1(SALU_CYCLE_1)
	v_add_co_u32 v5, s0, v1, s8
	s_delay_alu instid0(VALU_DEP_1) | instskip(SKIP_3) | instid1(SALU_CYCLE_1)
	v_add_co_ci_u32_e64 v6, null, 0, s9, s0
	s_mov_b32 s9, 0xbbbac73d
	s_waitcnt lgkmcnt(0)
	s_and_b32 s3, s10, 0xffff
	s_lshl_b32 s8, s3, 4
	s_branch .LBB62_3
.LBB62_2:                               ;   in Loop: Header=BB62_3 Depth=1
	s_or_b32 exec_lo, exec_lo, s0
	v_bfi_b32 v7, 0x7fffffff, v8, v7
	v_bfi_b32 v11, 0x7fffffff, v12, v11
	v_bfi_b32 v9, 0x7fffffff, v10, v9
	s_waitcnt_depctr 0xfff
	v_bfi_b32 v10, 0x7fffffff, v14, v13
	v_dual_mul_f32 v1, 0.5, v1 :: v_dual_mul_f32 v4, 0.5, v4
	v_add_f32_e32 v7, 1.0, v7
	v_dual_mul_f32 v3, 0.5, v3 :: v_dual_mul_f32 v2, 0.5, v2
	v_dual_add_f32 v8, 1.0, v11 :: v_dual_add_f32 v9, 1.0, v9
	v_add_nc_u32_e32 v0, s3, v0
	s_delay_alu instid0(VALU_DEP_4) | instskip(SKIP_1) | instid1(VALU_DEP_4)
	v_dual_add_f32 v10, 1.0, v10 :: v_dual_mul_f32 v1, v1, v7
	v_add_co_u32 v7, vcc_lo, s4, v5
	v_dual_mul_f32 v3, v3, v8 :: v_dual_mul_f32 v2, v2, v9
	v_add_co_ci_u32_e32 v8, vcc_lo, s5, v6, vcc_lo
	v_cmp_le_i32_e32 vcc_lo, s2, v0
	v_add_co_u32 v5, s0, v5, s8
	v_mul_f32_e32 v4, v4, v10
	v_add_co_ci_u32_e64 v6, s0, 0, v6, s0
	s_or_b32 s1, vcc_lo, s1
	global_store_b128 v[7:8], v[1:4], off
	s_and_not1_b32 exec_lo, exec_lo, s1
	s_cbranch_execz .LBB62_19
.LBB62_3:                               ; =>This Inner Loop Header: Depth=1
	v_add_co_u32 v1, vcc_lo, s6, v5
	v_add_co_ci_u32_e32 v2, vcc_lo, s7, v6, vcc_lo
                                        ; implicit-def: $vgpr8
	global_load_b128 v[1:4], v[1:2], off
	s_waitcnt vmcnt(0)
	v_mul_f32_e32 v7, v1, v1
	s_delay_alu instid0(VALU_DEP_1) | instskip(NEXT) | instid1(VALU_DEP_1)
	v_mul_f32_e32 v7, v1, v7
	v_fmamk_f32 v7, v7, 0x3d372713, v1
	s_delay_alu instid0(VALU_DEP_1) | instskip(NEXT) | instid1(VALU_DEP_1)
	v_mul_f32_e32 v7, 0x3f4c422a, v7
	v_cmp_ngt_f32_e64 s0, 0x3f200000, |v7|
	s_delay_alu instid0(VALU_DEP_1) | instskip(NEXT) | instid1(SALU_CYCLE_1)
	s_and_saveexec_b32 s10, s0
	s_xor_b32 s0, exec_lo, s10
	s_cbranch_execz .LBB62_5
; %bb.4:                                ;   in Loop: Header=BB62_3 Depth=1
	v_add_f32_e64 v8, |v7|, |v7|
	s_delay_alu instid0(VALU_DEP_1) | instskip(SKIP_1) | instid1(VALU_DEP_2)
	v_mul_f32_e32 v9, 0x3fb8aa3b, v8
	v_cmp_ngt_f32_e32 vcc_lo, 0xc2ce8ed0, v8
	v_rndne_f32_e32 v10, v9
	v_fma_f32 v11, 0x3fb8aa3b, v8, -v9
	s_delay_alu instid0(VALU_DEP_2) | instskip(NEXT) | instid1(VALU_DEP_2)
	v_sub_f32_e32 v9, v9, v10
	v_fmac_f32_e32 v11, 0x32a5705f, v8
	v_cvt_i32_f32_e32 v10, v10
	s_delay_alu instid0(VALU_DEP_2) | instskip(NEXT) | instid1(VALU_DEP_1)
	v_add_f32_e32 v9, v9, v11
	v_exp_f32_e32 v9, v9
	s_waitcnt_depctr 0xfff
	v_ldexp_f32 v9, v9, v10
	s_delay_alu instid0(VALU_DEP_1) | instskip(SKIP_1) | instid1(VALU_DEP_2)
	v_cndmask_b32_e32 v9, 0, v9, vcc_lo
	v_cmp_nlt_f32_e32 vcc_lo, 0x42b17218, v8
	v_cndmask_b32_e32 v8, 0x7f800000, v9, vcc_lo
	s_delay_alu instid0(VALU_DEP_1) | instskip(NEXT) | instid1(VALU_DEP_1)
	v_add_f32_e32 v8, 1.0, v8
	v_rcp_f32_e32 v8, v8
	s_waitcnt_depctr 0xfff
	v_fma_f32 v8, v8, -2.0, 1.0
.LBB62_5:                               ;   in Loop: Header=BB62_3 Depth=1
	s_and_not1_saveexec_b32 s0, s0
; %bb.6:                                ;   in Loop: Header=BB62_3 Depth=1
	v_mul_f32_e32 v8, v7, v7
	s_delay_alu instid0(VALU_DEP_1) | instskip(NEXT) | instid1(VALU_DEP_1)
	v_fmaak_f32 v9, s9, v8, 0x3ca908c9
	v_fmaak_f32 v9, v8, v9, 0xbd5c1c4e
	s_delay_alu instid0(VALU_DEP_1) | instskip(NEXT) | instid1(VALU_DEP_1)
	v_fmaak_f32 v9, v8, v9, 0x3e088382
	v_fmaak_f32 v9, v8, v9, 0xbeaaaa99
	s_delay_alu instid0(VALU_DEP_1) | instskip(NEXT) | instid1(VALU_DEP_1)
	v_mul_f32_e64 v9, |v7|, v9
	v_fma_f32 v8, v8, v9, |v7|
; %bb.7:                                ;   in Loop: Header=BB62_3 Depth=1
	s_or_b32 exec_lo, exec_lo, s0
	v_mul_f32_e32 v9, v2, v2
                                        ; implicit-def: $vgpr10
	s_delay_alu instid0(VALU_DEP_1) | instskip(NEXT) | instid1(VALU_DEP_1)
	v_mul_f32_e32 v9, v2, v9
	v_fmamk_f32 v9, v9, 0x3d372713, v2
	s_delay_alu instid0(VALU_DEP_1) | instskip(NEXT) | instid1(VALU_DEP_1)
	v_mul_f32_e32 v9, 0x3f4c422a, v9
	v_cmp_ngt_f32_e64 s0, 0x3f200000, |v9|
	s_delay_alu instid0(VALU_DEP_1) | instskip(NEXT) | instid1(SALU_CYCLE_1)
	s_and_saveexec_b32 s10, s0
	s_xor_b32 s0, exec_lo, s10
	s_cbranch_execz .LBB62_9
; %bb.8:                                ;   in Loop: Header=BB62_3 Depth=1
	v_add_f32_e64 v10, |v9|, |v9|
	s_delay_alu instid0(VALU_DEP_1) | instskip(SKIP_1) | instid1(VALU_DEP_2)
	v_mul_f32_e32 v11, 0x3fb8aa3b, v10
	v_cmp_ngt_f32_e32 vcc_lo, 0xc2ce8ed0, v10
	v_rndne_f32_e32 v12, v11
	v_fma_f32 v13, 0x3fb8aa3b, v10, -v11
	s_delay_alu instid0(VALU_DEP_2) | instskip(NEXT) | instid1(VALU_DEP_2)
	v_sub_f32_e32 v11, v11, v12
	v_fmac_f32_e32 v13, 0x32a5705f, v10
	v_cvt_i32_f32_e32 v12, v12
	s_delay_alu instid0(VALU_DEP_2) | instskip(NEXT) | instid1(VALU_DEP_1)
	v_add_f32_e32 v11, v11, v13
	v_exp_f32_e32 v11, v11
	s_waitcnt_depctr 0xfff
	v_ldexp_f32 v11, v11, v12
	s_delay_alu instid0(VALU_DEP_1) | instskip(SKIP_1) | instid1(VALU_DEP_2)
	v_cndmask_b32_e32 v11, 0, v11, vcc_lo
	v_cmp_nlt_f32_e32 vcc_lo, 0x42b17218, v10
	v_cndmask_b32_e32 v10, 0x7f800000, v11, vcc_lo
	s_delay_alu instid0(VALU_DEP_1) | instskip(NEXT) | instid1(VALU_DEP_1)
	v_add_f32_e32 v10, 1.0, v10
	v_rcp_f32_e32 v10, v10
	s_waitcnt_depctr 0xfff
	v_fma_f32 v10, v10, -2.0, 1.0
.LBB62_9:                               ;   in Loop: Header=BB62_3 Depth=1
	s_and_not1_saveexec_b32 s0, s0
; %bb.10:                               ;   in Loop: Header=BB62_3 Depth=1
	v_mul_f32_e32 v10, v9, v9
	s_delay_alu instid0(VALU_DEP_1) | instskip(NEXT) | instid1(VALU_DEP_1)
	v_fmaak_f32 v11, s9, v10, 0x3ca908c9
	v_fmaak_f32 v11, v10, v11, 0xbd5c1c4e
	s_delay_alu instid0(VALU_DEP_1) | instskip(NEXT) | instid1(VALU_DEP_1)
	v_fmaak_f32 v11, v10, v11, 0x3e088382
	v_fmaak_f32 v11, v10, v11, 0xbeaaaa99
	s_delay_alu instid0(VALU_DEP_1) | instskip(NEXT) | instid1(VALU_DEP_1)
	v_mul_f32_e64 v11, |v9|, v11
	v_fma_f32 v10, v10, v11, |v9|
; %bb.11:                               ;   in Loop: Header=BB62_3 Depth=1
	s_or_b32 exec_lo, exec_lo, s0
	v_mul_f32_e32 v11, v3, v3
                                        ; implicit-def: $vgpr12
	s_delay_alu instid0(VALU_DEP_1) | instskip(NEXT) | instid1(VALU_DEP_1)
	v_mul_f32_e32 v11, v3, v11
	v_fmamk_f32 v11, v11, 0x3d372713, v3
	s_delay_alu instid0(VALU_DEP_1) | instskip(NEXT) | instid1(VALU_DEP_1)
	v_mul_f32_e32 v11, 0x3f4c422a, v11
	v_cmp_ngt_f32_e64 s0, 0x3f200000, |v11|
	s_delay_alu instid0(VALU_DEP_1) | instskip(NEXT) | instid1(SALU_CYCLE_1)
	s_and_saveexec_b32 s10, s0
	s_xor_b32 s0, exec_lo, s10
	s_cbranch_execz .LBB62_13
; %bb.12:                               ;   in Loop: Header=BB62_3 Depth=1
	v_add_f32_e64 v12, |v11|, |v11|
	s_delay_alu instid0(VALU_DEP_1) | instskip(SKIP_1) | instid1(VALU_DEP_2)
	v_mul_f32_e32 v13, 0x3fb8aa3b, v12
	v_cmp_ngt_f32_e32 vcc_lo, 0xc2ce8ed0, v12
	v_rndne_f32_e32 v14, v13
	v_fma_f32 v15, 0x3fb8aa3b, v12, -v13
	s_delay_alu instid0(VALU_DEP_2) | instskip(NEXT) | instid1(VALU_DEP_2)
	v_sub_f32_e32 v13, v13, v14
	v_fmac_f32_e32 v15, 0x32a5705f, v12
	v_cvt_i32_f32_e32 v14, v14
	s_delay_alu instid0(VALU_DEP_2) | instskip(NEXT) | instid1(VALU_DEP_1)
	v_add_f32_e32 v13, v13, v15
	v_exp_f32_e32 v13, v13
	s_waitcnt_depctr 0xfff
	v_ldexp_f32 v13, v13, v14
	s_delay_alu instid0(VALU_DEP_1) | instskip(SKIP_1) | instid1(VALU_DEP_2)
	v_cndmask_b32_e32 v13, 0, v13, vcc_lo
	v_cmp_nlt_f32_e32 vcc_lo, 0x42b17218, v12
	v_cndmask_b32_e32 v12, 0x7f800000, v13, vcc_lo
	s_delay_alu instid0(VALU_DEP_1) | instskip(NEXT) | instid1(VALU_DEP_1)
	v_add_f32_e32 v12, 1.0, v12
	v_rcp_f32_e32 v12, v12
	s_waitcnt_depctr 0xfff
	v_fma_f32 v12, v12, -2.0, 1.0
.LBB62_13:                              ;   in Loop: Header=BB62_3 Depth=1
	s_and_not1_saveexec_b32 s0, s0
; %bb.14:                               ;   in Loop: Header=BB62_3 Depth=1
	v_mul_f32_e32 v12, v11, v11
	s_delay_alu instid0(VALU_DEP_1) | instskip(NEXT) | instid1(VALU_DEP_1)
	v_fmaak_f32 v13, s9, v12, 0x3ca908c9
	v_fmaak_f32 v13, v12, v13, 0xbd5c1c4e
	s_delay_alu instid0(VALU_DEP_1) | instskip(NEXT) | instid1(VALU_DEP_1)
	v_fmaak_f32 v13, v12, v13, 0x3e088382
	v_fmaak_f32 v13, v12, v13, 0xbeaaaa99
	s_delay_alu instid0(VALU_DEP_1) | instskip(NEXT) | instid1(VALU_DEP_1)
	v_mul_f32_e64 v13, |v11|, v13
	v_fma_f32 v12, v12, v13, |v11|
; %bb.15:                               ;   in Loop: Header=BB62_3 Depth=1
	s_or_b32 exec_lo, exec_lo, s0
	v_mul_f32_e32 v13, v4, v4
                                        ; implicit-def: $vgpr14
	s_delay_alu instid0(VALU_DEP_1) | instskip(NEXT) | instid1(VALU_DEP_1)
	v_mul_f32_e32 v13, v4, v13
	v_fmamk_f32 v13, v13, 0x3d372713, v4
	s_delay_alu instid0(VALU_DEP_1) | instskip(NEXT) | instid1(VALU_DEP_1)
	v_mul_f32_e32 v13, 0x3f4c422a, v13
	v_cmp_ngt_f32_e64 s0, 0x3f200000, |v13|
	s_delay_alu instid0(VALU_DEP_1) | instskip(NEXT) | instid1(SALU_CYCLE_1)
	s_and_saveexec_b32 s10, s0
	s_xor_b32 s0, exec_lo, s10
	s_cbranch_execz .LBB62_17
; %bb.16:                               ;   in Loop: Header=BB62_3 Depth=1
	v_add_f32_e64 v14, |v13|, |v13|
	s_delay_alu instid0(VALU_DEP_1) | instskip(SKIP_1) | instid1(VALU_DEP_2)
	v_mul_f32_e32 v15, 0x3fb8aa3b, v14
	v_cmp_ngt_f32_e32 vcc_lo, 0xc2ce8ed0, v14
	v_rndne_f32_e32 v16, v15
	v_fma_f32 v17, 0x3fb8aa3b, v14, -v15
	s_delay_alu instid0(VALU_DEP_2) | instskip(NEXT) | instid1(VALU_DEP_2)
	v_sub_f32_e32 v15, v15, v16
	v_fmac_f32_e32 v17, 0x32a5705f, v14
	v_cvt_i32_f32_e32 v16, v16
	s_delay_alu instid0(VALU_DEP_2) | instskip(NEXT) | instid1(VALU_DEP_1)
	v_add_f32_e32 v15, v15, v17
	v_exp_f32_e32 v15, v15
	s_waitcnt_depctr 0xfff
	v_ldexp_f32 v15, v15, v16
	s_delay_alu instid0(VALU_DEP_1) | instskip(SKIP_1) | instid1(VALU_DEP_2)
	v_cndmask_b32_e32 v15, 0, v15, vcc_lo
	v_cmp_nlt_f32_e32 vcc_lo, 0x42b17218, v14
	v_cndmask_b32_e32 v14, 0x7f800000, v15, vcc_lo
	s_delay_alu instid0(VALU_DEP_1) | instskip(NEXT) | instid1(VALU_DEP_1)
	v_add_f32_e32 v14, 1.0, v14
	v_rcp_f32_e32 v14, v14
	s_waitcnt_depctr 0xfff
	v_fma_f32 v14, v14, -2.0, 1.0
.LBB62_17:                              ;   in Loop: Header=BB62_3 Depth=1
	s_and_not1_saveexec_b32 s0, s0
	s_cbranch_execz .LBB62_2
; %bb.18:                               ;   in Loop: Header=BB62_3 Depth=1
	v_mul_f32_e32 v14, v13, v13
	s_delay_alu instid0(VALU_DEP_1) | instskip(NEXT) | instid1(VALU_DEP_1)
	v_fmaak_f32 v15, s9, v14, 0x3ca908c9
	v_fmaak_f32 v15, v14, v15, 0xbd5c1c4e
	s_delay_alu instid0(VALU_DEP_1) | instskip(NEXT) | instid1(VALU_DEP_1)
	v_fmaak_f32 v15, v14, v15, 0x3e088382
	v_fmaak_f32 v15, v14, v15, 0xbeaaaa99
	s_delay_alu instid0(VALU_DEP_1) | instskip(NEXT) | instid1(VALU_DEP_1)
	v_mul_f32_e64 v15, |v13|, v15
	v_fma_f32 v14, v14, v15, |v13|
	s_branch .LBB62_2
.LBB62_19:
	s_nop 0
	s_sendmsg sendmsg(MSG_DEALLOC_VGPRS)
	s_endpgm
	.section	.rodata,"a",@progbits
	.p2align	6, 0x0
	.amdhsa_kernel _ZN4vllm17activation_kernelIfTnPFT_RKS1_EXadL_ZNS_15gelu_new_kernelIfEES1_S3_EELb1ELb0EEEvPS1_PS2_i
		.amdhsa_group_segment_fixed_size 0
		.amdhsa_private_segment_fixed_size 0
		.amdhsa_kernarg_size 280
		.amdhsa_user_sgpr_count 15
		.amdhsa_user_sgpr_dispatch_ptr 0
		.amdhsa_user_sgpr_queue_ptr 0
		.amdhsa_user_sgpr_kernarg_segment_ptr 1
		.amdhsa_user_sgpr_dispatch_id 0
		.amdhsa_user_sgpr_private_segment_size 0
		.amdhsa_wavefront_size32 1
		.amdhsa_uses_dynamic_stack 0
		.amdhsa_enable_private_segment 0
		.amdhsa_system_sgpr_workgroup_id_x 1
		.amdhsa_system_sgpr_workgroup_id_y 0
		.amdhsa_system_sgpr_workgroup_id_z 0
		.amdhsa_system_sgpr_workgroup_info 0
		.amdhsa_system_vgpr_workitem_id 0
		.amdhsa_next_free_vgpr 18
		.amdhsa_next_free_sgpr 16
		.amdhsa_reserve_vcc 1
		.amdhsa_float_round_mode_32 0
		.amdhsa_float_round_mode_16_64 0
		.amdhsa_float_denorm_mode_32 3
		.amdhsa_float_denorm_mode_16_64 3
		.amdhsa_dx10_clamp 1
		.amdhsa_ieee_mode 1
		.amdhsa_fp16_overflow 0
		.amdhsa_workgroup_processor_mode 1
		.amdhsa_memory_ordered 1
		.amdhsa_forward_progress 0
		.amdhsa_shared_vgpr_count 0
		.amdhsa_exception_fp_ieee_invalid_op 0
		.amdhsa_exception_fp_denorm_src 0
		.amdhsa_exception_fp_ieee_div_zero 0
		.amdhsa_exception_fp_ieee_overflow 0
		.amdhsa_exception_fp_ieee_underflow 0
		.amdhsa_exception_fp_ieee_inexact 0
		.amdhsa_exception_int_div_zero 0
	.end_amdhsa_kernel
	.section	.text._ZN4vllm17activation_kernelIfTnPFT_RKS1_EXadL_ZNS_15gelu_new_kernelIfEES1_S3_EELb1ELb0EEEvPS1_PS2_i,"axG",@progbits,_ZN4vllm17activation_kernelIfTnPFT_RKS1_EXadL_ZNS_15gelu_new_kernelIfEES1_S3_EELb1ELb0EEEvPS1_PS2_i,comdat
.Lfunc_end62:
	.size	_ZN4vllm17activation_kernelIfTnPFT_RKS1_EXadL_ZNS_15gelu_new_kernelIfEES1_S3_EELb1ELb0EEEvPS1_PS2_i, .Lfunc_end62-_ZN4vllm17activation_kernelIfTnPFT_RKS1_EXadL_ZNS_15gelu_new_kernelIfEES1_S3_EELb1ELb0EEEvPS1_PS2_i
                                        ; -- End function
	.section	.AMDGPU.csdata,"",@progbits
; Kernel info:
; codeLenInByte = 1420
; NumSgprs: 18
; NumVgprs: 18
; ScratchSize: 0
; MemoryBound: 0
; FloatMode: 240
; IeeeMode: 1
; LDSByteSize: 0 bytes/workgroup (compile time only)
; SGPRBlocks: 2
; VGPRBlocks: 2
; NumSGPRsForWavesPerEU: 18
; NumVGPRsForWavesPerEU: 18
; Occupancy: 16
; WaveLimiterHint : 0
; COMPUTE_PGM_RSRC2:SCRATCH_EN: 0
; COMPUTE_PGM_RSRC2:USER_SGPR: 15
; COMPUTE_PGM_RSRC2:TRAP_HANDLER: 0
; COMPUTE_PGM_RSRC2:TGID_X_EN: 1
; COMPUTE_PGM_RSRC2:TGID_Y_EN: 0
; COMPUTE_PGM_RSRC2:TGID_Z_EN: 0
; COMPUTE_PGM_RSRC2:TIDIG_COMP_CNT: 0
	.section	.text._ZN4vllm17activation_kernelIN3c104HalfETnPFT_RKS3_EXadL_ZNS_15gelu_new_kernelIS2_EES3_S5_EELb1ELb0EEEvPS3_PS4_i,"axG",@progbits,_ZN4vllm17activation_kernelIN3c104HalfETnPFT_RKS3_EXadL_ZNS_15gelu_new_kernelIS2_EES3_S5_EELb1ELb0EEEvPS3_PS4_i,comdat
	.protected	_ZN4vllm17activation_kernelIN3c104HalfETnPFT_RKS3_EXadL_ZNS_15gelu_new_kernelIS2_EES3_S5_EELb1ELb0EEEvPS3_PS4_i ; -- Begin function _ZN4vllm17activation_kernelIN3c104HalfETnPFT_RKS3_EXadL_ZNS_15gelu_new_kernelIS2_EES3_S5_EELb1ELb0EEEvPS3_PS4_i
	.globl	_ZN4vllm17activation_kernelIN3c104HalfETnPFT_RKS3_EXadL_ZNS_15gelu_new_kernelIS2_EES3_S5_EELb1ELb0EEEvPS3_PS4_i
	.p2align	8
	.type	_ZN4vllm17activation_kernelIN3c104HalfETnPFT_RKS3_EXadL_ZNS_15gelu_new_kernelIS2_EES3_S5_EELb1ELb0EEEvPS3_PS4_i,@function
_ZN4vllm17activation_kernelIN3c104HalfETnPFT_RKS3_EXadL_ZNS_15gelu_new_kernelIS2_EES3_S5_EELb1ELb0EEEvPS3_PS4_i: ; @_ZN4vllm17activation_kernelIN3c104HalfETnPFT_RKS3_EXadL_ZNS_15gelu_new_kernelIS2_EES3_S5_EELb1ELb0EEEvPS3_PS4_i
; %bb.0:
	s_load_b32 s2, s[0:1], 0x10
	s_waitcnt lgkmcnt(0)
	s_ashr_i32 s3, s2, 31
	s_delay_alu instid0(SALU_CYCLE_1) | instskip(NEXT) | instid1(SALU_CYCLE_1)
	s_lshr_b32 s3, s3, 29
	s_add_i32 s3, s2, s3
	s_delay_alu instid0(SALU_CYCLE_1)
	s_ashr_i32 s4, s3, 3
	s_mov_b32 s3, exec_lo
	v_cmpx_gt_i32_e64 s4, v0
	s_cbranch_execz .LBB63_35
; %bb.1:
	s_clause 0x1
	s_load_b32 s6, s[0:1], 0x24
	s_load_b128 s[8:11], s[0:1], 0x0
	v_lshlrev_b32_e32 v1, 4, v0
	s_mul_i32 s0, s15, s2
	s_mov_b32 s1, 0
	s_mov_b32 s5, 0x3d372713
	s_lshl_b64 s[2:3], s[0:1], 1
	s_waitcnt lgkmcnt(0)
	s_and_b32 s6, s6, 0xffff
	v_add_co_u32 v5, s0, s8, v1
	s_delay_alu instid0(VALU_DEP_1) | instskip(SKIP_1) | instid1(VALU_DEP_1)
	v_add_co_ci_u32_e64 v6, null, s9, 0, s0
	v_add_co_u32 v7, s0, s10, v1
	v_add_co_ci_u32_e64 v8, null, s11, 0, s0
	s_lshl_b32 s7, s6, 4
	s_mov_b32 s8, 0x3f4c422a
	s_mov_b32 s9, 0xbbbac73d
	s_branch .LBB63_3
.LBB63_2:                               ;   in Loop: Header=BB63_3 Depth=1
	s_or_b32 exec_lo, exec_lo, s0
	v_cvt_f16_f32_e32 v20, v20
	v_lshrrev_b32_e32 v19, 16, v19
	v_mul_f16_e32 v3, 0.5, v3
	v_cvt_f16_f32_e32 v15, v15
	v_lshrrev_b32_e32 v14, 16, v14
	v_cvt_f16_f32_e32 v10, v10
	v_bfi_b32 v19, 0x7fff, v20, v19
	v_lshrrev_b32_e32 v9, 16, v9
	v_cvt_f16_f32_e32 v13, v13
	v_lshrrev_b32_e32 v12, 16, v12
	v_cvt_f16_f32_e32 v27, v27
	v_add_f16_e32 v19, 1.0, v19
	v_lshrrev_b32_e32 v25, 16, v25
	v_cvt_f16_f32_e32 v23, v23
	v_lshrrev_b32_e32 v22, 16, v22
	v_cvt_f16_f32_e32 v18, v18
	v_lshrrev_b32_e32 v17, 16, v17
	v_mul_f16_e32 v3, v3, v19
	v_bfi_b32 v14, 0x7fff, v15, v14
	v_cvt_f16_f32_e32 v15, v28
	v_lshrrev_b32_e32 v19, 16, v26
	v_bfi_b32 v9, 0x7fff, v10, v9
	v_bfi_b32 v12, 0x7fff, v13, v12
	;; [unrolled: 1-line block ×5, first 2 shown]
	v_mul_f16_e32 v10, 0.5, v11
	v_bfi_b32 v11, 0x7fff, v15, v19
	v_mul_f16_e32 v1, 0.5, v1
	v_add_f16_e32 v9, 1.0, v9
	v_add_f16_e32 v12, 1.0, v12
	v_mul_f16_e32 v4, 0.5, v4
	v_mul_f16_e32 v21, 0.5, v21
	v_add_f16_e32 v23, 1.0, v25
	v_add_f16_e32 v20, 1.0, v22
	v_mul_f16_e32 v16, 0.5, v16
	v_add_f16_e32 v17, 1.0, v17
	v_mul_f16_e32 v2, 0.5, v2
	;; [unrolled: 2-line block ×3, first 2 shown]
	v_add_f16_e32 v11, 1.0, v11
	v_mul_f16_e32 v1, v1, v9
	v_add_co_u32 v9, vcc_lo, v5, s2
	v_add_nc_u32_e32 v0, s6, v0
	v_mul_f16_e32 v12, v10, v12
	v_add_co_ci_u32_e32 v10, vcc_lo, s3, v6, vcc_lo
	v_mul_f16_e32 v4, v4, v23
	v_mul_f16_e32 v18, v21, v20
	;; [unrolled: 1-line block ×5, first 2 shown]
	v_add_co_u32 v5, vcc_lo, v5, s7
	v_add_co_ci_u32_e32 v6, vcc_lo, 0, v6, vcc_lo
	v_cmp_le_i32_e32 vcc_lo, s4, v0
	v_add_co_u32 v7, s0, v7, s7
	v_pack_b32_f16 v4, v4, v11
	v_pack_b32_f16 v3, v3, v18
	;; [unrolled: 1-line block ×4, first 2 shown]
	v_add_co_ci_u32_e64 v8, s0, 0, v8, s0
	s_or_b32 s1, vcc_lo, s1
	global_store_b128 v[9:10], v[1:4], off
	s_and_not1_b32 exec_lo, exec_lo, s1
	s_cbranch_execz .LBB63_35
.LBB63_3:                               ; =>This Inner Loop Header: Depth=1
	v_add_co_u32 v1, vcc_lo, v7, s2
	v_add_co_ci_u32_e32 v2, vcc_lo, s3, v8, vcc_lo
                                        ; implicit-def: $vgpr10
	global_load_b128 v[1:4], v[1:2], off
	s_waitcnt vmcnt(0)
	v_mul_f16_e32 v9, v1, v1
	s_delay_alu instid0(VALU_DEP_1) | instskip(NEXT) | instid1(VALU_DEP_1)
	v_mul_f16_e32 v9, v1, v9
	v_fma_mixlo_f16 v9, v9, s5, 0 op_sel_hi:[1,0,0]
	s_delay_alu instid0(VALU_DEP_1) | instskip(NEXT) | instid1(VALU_DEP_1)
	v_add_f16_e32 v9, v1, v9
	v_fma_mixlo_f16 v9, v9, s8, 0 op_sel_hi:[1,0,0]
	s_delay_alu instid0(VALU_DEP_1) | instskip(NEXT) | instid1(VALU_DEP_1)
	v_cvt_f32_f16_e32 v9, v9
	v_cmp_ngt_f32_e64 s0, 0x3f200000, |v9|
	s_delay_alu instid0(VALU_DEP_1) | instskip(NEXT) | instid1(SALU_CYCLE_1)
	s_and_saveexec_b32 s10, s0
	s_xor_b32 s0, exec_lo, s10
	s_cbranch_execz .LBB63_5
; %bb.4:                                ;   in Loop: Header=BB63_3 Depth=1
	v_add_f32_e64 v10, |v9|, |v9|
	s_delay_alu instid0(VALU_DEP_1) | instskip(SKIP_1) | instid1(VALU_DEP_2)
	v_mul_f32_e32 v11, 0x3fb8aa3b, v10
	v_cmp_ngt_f32_e32 vcc_lo, 0xc2ce8ed0, v10
	v_rndne_f32_e32 v12, v11
	v_fma_f32 v13, 0x3fb8aa3b, v10, -v11
	s_delay_alu instid0(VALU_DEP_2) | instskip(NEXT) | instid1(VALU_DEP_2)
	v_sub_f32_e32 v11, v11, v12
	v_fmac_f32_e32 v13, 0x32a5705f, v10
	v_cvt_i32_f32_e32 v12, v12
	s_delay_alu instid0(VALU_DEP_2) | instskip(NEXT) | instid1(VALU_DEP_1)
	v_add_f32_e32 v11, v11, v13
	v_exp_f32_e32 v11, v11
	s_waitcnt_depctr 0xfff
	v_ldexp_f32 v11, v11, v12
	s_delay_alu instid0(VALU_DEP_1) | instskip(SKIP_1) | instid1(VALU_DEP_2)
	v_cndmask_b32_e32 v11, 0, v11, vcc_lo
	v_cmp_nlt_f32_e32 vcc_lo, 0x42b17218, v10
	v_cndmask_b32_e32 v10, 0x7f800000, v11, vcc_lo
	s_delay_alu instid0(VALU_DEP_1) | instskip(NEXT) | instid1(VALU_DEP_1)
	v_add_f32_e32 v10, 1.0, v10
	v_rcp_f32_e32 v10, v10
	s_waitcnt_depctr 0xfff
	v_fma_f32 v10, v10, -2.0, 1.0
.LBB63_5:                               ;   in Loop: Header=BB63_3 Depth=1
	s_and_not1_saveexec_b32 s0, s0
; %bb.6:                                ;   in Loop: Header=BB63_3 Depth=1
	v_mul_f32_e32 v10, v9, v9
	s_delay_alu instid0(VALU_DEP_1) | instskip(NEXT) | instid1(VALU_DEP_1)
	v_fmaak_f32 v11, s9, v10, 0x3ca908c9
	v_fmaak_f32 v11, v10, v11, 0xbd5c1c4e
	s_delay_alu instid0(VALU_DEP_1) | instskip(NEXT) | instid1(VALU_DEP_1)
	v_fmaak_f32 v11, v10, v11, 0x3e088382
	v_fmaak_f32 v11, v10, v11, 0xbeaaaa99
	s_delay_alu instid0(VALU_DEP_1) | instskip(NEXT) | instid1(VALU_DEP_1)
	v_mul_f32_e64 v11, |v9|, v11
	v_fma_f32 v10, v10, v11, |v9|
; %bb.7:                                ;   in Loop: Header=BB63_3 Depth=1
	s_or_b32 exec_lo, exec_lo, s0
	v_lshrrev_b32_e32 v11, 16, v1
                                        ; implicit-def: $vgpr13
	s_delay_alu instid0(VALU_DEP_1) | instskip(NEXT) | instid1(VALU_DEP_1)
	v_mul_f16_e32 v12, v11, v11
	v_mul_f16_e32 v12, v11, v12
	s_delay_alu instid0(VALU_DEP_1) | instskip(NEXT) | instid1(VALU_DEP_1)
	v_fma_mixlo_f16 v12, v12, s5, 0 op_sel_hi:[1,0,0]
	v_add_f16_e32 v12, v11, v12
	s_delay_alu instid0(VALU_DEP_1) | instskip(NEXT) | instid1(VALU_DEP_1)
	v_fma_mixlo_f16 v12, v12, s8, 0 op_sel_hi:[1,0,0]
	v_cvt_f32_f16_e32 v12, v12
	s_delay_alu instid0(VALU_DEP_1) | instskip(NEXT) | instid1(VALU_DEP_1)
	v_cmp_ngt_f32_e64 s0, 0x3f200000, |v12|
	s_and_saveexec_b32 s10, s0
	s_delay_alu instid0(SALU_CYCLE_1)
	s_xor_b32 s0, exec_lo, s10
	s_cbranch_execz .LBB63_9
; %bb.8:                                ;   in Loop: Header=BB63_3 Depth=1
	v_add_f32_e64 v13, |v12|, |v12|
	s_delay_alu instid0(VALU_DEP_1) | instskip(SKIP_1) | instid1(VALU_DEP_2)
	v_mul_f32_e32 v14, 0x3fb8aa3b, v13
	v_cmp_ngt_f32_e32 vcc_lo, 0xc2ce8ed0, v13
	v_rndne_f32_e32 v15, v14
	v_fma_f32 v16, 0x3fb8aa3b, v13, -v14
	s_delay_alu instid0(VALU_DEP_2) | instskip(NEXT) | instid1(VALU_DEP_2)
	v_sub_f32_e32 v14, v14, v15
	v_fmac_f32_e32 v16, 0x32a5705f, v13
	v_cvt_i32_f32_e32 v15, v15
	s_delay_alu instid0(VALU_DEP_2) | instskip(NEXT) | instid1(VALU_DEP_1)
	v_add_f32_e32 v14, v14, v16
	v_exp_f32_e32 v14, v14
	s_waitcnt_depctr 0xfff
	v_ldexp_f32 v14, v14, v15
	s_delay_alu instid0(VALU_DEP_1) | instskip(SKIP_1) | instid1(VALU_DEP_2)
	v_cndmask_b32_e32 v14, 0, v14, vcc_lo
	v_cmp_nlt_f32_e32 vcc_lo, 0x42b17218, v13
	v_cndmask_b32_e32 v13, 0x7f800000, v14, vcc_lo
	s_delay_alu instid0(VALU_DEP_1) | instskip(NEXT) | instid1(VALU_DEP_1)
	v_add_f32_e32 v13, 1.0, v13
	v_rcp_f32_e32 v13, v13
	s_waitcnt_depctr 0xfff
	v_fma_f32 v13, v13, -2.0, 1.0
.LBB63_9:                               ;   in Loop: Header=BB63_3 Depth=1
	s_and_not1_saveexec_b32 s0, s0
; %bb.10:                               ;   in Loop: Header=BB63_3 Depth=1
	v_mul_f32_e32 v13, v12, v12
	s_delay_alu instid0(VALU_DEP_1) | instskip(NEXT) | instid1(VALU_DEP_1)
	v_fmaak_f32 v14, s9, v13, 0x3ca908c9
	v_fmaak_f32 v14, v13, v14, 0xbd5c1c4e
	s_delay_alu instid0(VALU_DEP_1) | instskip(NEXT) | instid1(VALU_DEP_1)
	v_fmaak_f32 v14, v13, v14, 0x3e088382
	v_fmaak_f32 v14, v13, v14, 0xbeaaaa99
	s_delay_alu instid0(VALU_DEP_1) | instskip(NEXT) | instid1(VALU_DEP_1)
	v_mul_f32_e64 v14, |v12|, v14
	v_fma_f32 v13, v13, v14, |v12|
; %bb.11:                               ;   in Loop: Header=BB63_3 Depth=1
	s_or_b32 exec_lo, exec_lo, s0
	v_mul_f16_e32 v14, v2, v2
                                        ; implicit-def: $vgpr15
	s_delay_alu instid0(VALU_DEP_1) | instskip(NEXT) | instid1(VALU_DEP_1)
	v_mul_f16_e32 v14, v2, v14
	v_fma_mixlo_f16 v14, v14, s5, 0 op_sel_hi:[1,0,0]
	s_delay_alu instid0(VALU_DEP_1) | instskip(NEXT) | instid1(VALU_DEP_1)
	v_add_f16_e32 v14, v2, v14
	v_fma_mixlo_f16 v14, v14, s8, 0 op_sel_hi:[1,0,0]
	s_delay_alu instid0(VALU_DEP_1) | instskip(NEXT) | instid1(VALU_DEP_1)
	v_cvt_f32_f16_e32 v14, v14
	v_cmp_ngt_f32_e64 s0, 0x3f200000, |v14|
	s_delay_alu instid0(VALU_DEP_1) | instskip(NEXT) | instid1(SALU_CYCLE_1)
	s_and_saveexec_b32 s10, s0
	s_xor_b32 s0, exec_lo, s10
	s_cbranch_execz .LBB63_13
; %bb.12:                               ;   in Loop: Header=BB63_3 Depth=1
	v_add_f32_e64 v15, |v14|, |v14|
	s_delay_alu instid0(VALU_DEP_1) | instskip(SKIP_1) | instid1(VALU_DEP_2)
	v_mul_f32_e32 v16, 0x3fb8aa3b, v15
	v_cmp_ngt_f32_e32 vcc_lo, 0xc2ce8ed0, v15
	v_rndne_f32_e32 v17, v16
	v_fma_f32 v18, 0x3fb8aa3b, v15, -v16
	s_delay_alu instid0(VALU_DEP_2) | instskip(NEXT) | instid1(VALU_DEP_2)
	v_sub_f32_e32 v16, v16, v17
	v_fmac_f32_e32 v18, 0x32a5705f, v15
	v_cvt_i32_f32_e32 v17, v17
	s_delay_alu instid0(VALU_DEP_2) | instskip(NEXT) | instid1(VALU_DEP_1)
	v_add_f32_e32 v16, v16, v18
	v_exp_f32_e32 v16, v16
	s_waitcnt_depctr 0xfff
	v_ldexp_f32 v16, v16, v17
	s_delay_alu instid0(VALU_DEP_1) | instskip(SKIP_1) | instid1(VALU_DEP_2)
	v_cndmask_b32_e32 v16, 0, v16, vcc_lo
	v_cmp_nlt_f32_e32 vcc_lo, 0x42b17218, v15
	v_cndmask_b32_e32 v15, 0x7f800000, v16, vcc_lo
	s_delay_alu instid0(VALU_DEP_1) | instskip(NEXT) | instid1(VALU_DEP_1)
	v_add_f32_e32 v15, 1.0, v15
	v_rcp_f32_e32 v15, v15
	s_waitcnt_depctr 0xfff
	v_fma_f32 v15, v15, -2.0, 1.0
.LBB63_13:                              ;   in Loop: Header=BB63_3 Depth=1
	s_and_not1_saveexec_b32 s0, s0
; %bb.14:                               ;   in Loop: Header=BB63_3 Depth=1
	v_mul_f32_e32 v15, v14, v14
	s_delay_alu instid0(VALU_DEP_1) | instskip(NEXT) | instid1(VALU_DEP_1)
	v_fmaak_f32 v16, s9, v15, 0x3ca908c9
	v_fmaak_f32 v16, v15, v16, 0xbd5c1c4e
	s_delay_alu instid0(VALU_DEP_1) | instskip(NEXT) | instid1(VALU_DEP_1)
	v_fmaak_f32 v16, v15, v16, 0x3e088382
	v_fmaak_f32 v16, v15, v16, 0xbeaaaa99
	s_delay_alu instid0(VALU_DEP_1) | instskip(NEXT) | instid1(VALU_DEP_1)
	v_mul_f32_e64 v16, |v14|, v16
	v_fma_f32 v15, v15, v16, |v14|
; %bb.15:                               ;   in Loop: Header=BB63_3 Depth=1
	s_or_b32 exec_lo, exec_lo, s0
	v_lshrrev_b32_e32 v16, 16, v2
                                        ; implicit-def: $vgpr18
	s_delay_alu instid0(VALU_DEP_1) | instskip(NEXT) | instid1(VALU_DEP_1)
	v_mul_f16_e32 v17, v16, v16
	v_mul_f16_e32 v17, v16, v17
	s_delay_alu instid0(VALU_DEP_1) | instskip(NEXT) | instid1(VALU_DEP_1)
	v_fma_mixlo_f16 v17, v17, s5, 0 op_sel_hi:[1,0,0]
	v_add_f16_e32 v17, v16, v17
	s_delay_alu instid0(VALU_DEP_1) | instskip(NEXT) | instid1(VALU_DEP_1)
	v_fma_mixlo_f16 v17, v17, s8, 0 op_sel_hi:[1,0,0]
	v_cvt_f32_f16_e32 v17, v17
	s_delay_alu instid0(VALU_DEP_1) | instskip(NEXT) | instid1(VALU_DEP_1)
	v_cmp_ngt_f32_e64 s0, 0x3f200000, |v17|
	s_and_saveexec_b32 s10, s0
	s_delay_alu instid0(SALU_CYCLE_1)
	s_xor_b32 s0, exec_lo, s10
	s_cbranch_execz .LBB63_17
; %bb.16:                               ;   in Loop: Header=BB63_3 Depth=1
	v_add_f32_e64 v18, |v17|, |v17|
	s_delay_alu instid0(VALU_DEP_1) | instskip(SKIP_1) | instid1(VALU_DEP_2)
	v_mul_f32_e32 v19, 0x3fb8aa3b, v18
	v_cmp_ngt_f32_e32 vcc_lo, 0xc2ce8ed0, v18
	v_rndne_f32_e32 v20, v19
	v_fma_f32 v21, 0x3fb8aa3b, v18, -v19
	s_delay_alu instid0(VALU_DEP_2) | instskip(NEXT) | instid1(VALU_DEP_2)
	v_sub_f32_e32 v19, v19, v20
	v_fmac_f32_e32 v21, 0x32a5705f, v18
	v_cvt_i32_f32_e32 v20, v20
	s_delay_alu instid0(VALU_DEP_2) | instskip(NEXT) | instid1(VALU_DEP_1)
	v_add_f32_e32 v19, v19, v21
	v_exp_f32_e32 v19, v19
	s_waitcnt_depctr 0xfff
	v_ldexp_f32 v19, v19, v20
	s_delay_alu instid0(VALU_DEP_1) | instskip(SKIP_1) | instid1(VALU_DEP_2)
	v_cndmask_b32_e32 v19, 0, v19, vcc_lo
	v_cmp_nlt_f32_e32 vcc_lo, 0x42b17218, v18
	v_cndmask_b32_e32 v18, 0x7f800000, v19, vcc_lo
	s_delay_alu instid0(VALU_DEP_1) | instskip(NEXT) | instid1(VALU_DEP_1)
	v_add_f32_e32 v18, 1.0, v18
	v_rcp_f32_e32 v18, v18
	s_waitcnt_depctr 0xfff
	v_fma_f32 v18, v18, -2.0, 1.0
.LBB63_17:                              ;   in Loop: Header=BB63_3 Depth=1
	s_and_not1_saveexec_b32 s0, s0
; %bb.18:                               ;   in Loop: Header=BB63_3 Depth=1
	v_mul_f32_e32 v18, v17, v17
	s_delay_alu instid0(VALU_DEP_1) | instskip(NEXT) | instid1(VALU_DEP_1)
	v_fmaak_f32 v19, s9, v18, 0x3ca908c9
	v_fmaak_f32 v19, v18, v19, 0xbd5c1c4e
	s_delay_alu instid0(VALU_DEP_1) | instskip(NEXT) | instid1(VALU_DEP_1)
	v_fmaak_f32 v19, v18, v19, 0x3e088382
	v_fmaak_f32 v19, v18, v19, 0xbeaaaa99
	s_delay_alu instid0(VALU_DEP_1) | instskip(NEXT) | instid1(VALU_DEP_1)
	v_mul_f32_e64 v19, |v17|, v19
	v_fma_f32 v18, v18, v19, |v17|
; %bb.19:                               ;   in Loop: Header=BB63_3 Depth=1
	s_or_b32 exec_lo, exec_lo, s0
	v_mul_f16_e32 v19, v3, v3
                                        ; implicit-def: $vgpr20
	s_delay_alu instid0(VALU_DEP_1) | instskip(NEXT) | instid1(VALU_DEP_1)
	v_mul_f16_e32 v19, v3, v19
	v_fma_mixlo_f16 v19, v19, s5, 0 op_sel_hi:[1,0,0]
	s_delay_alu instid0(VALU_DEP_1) | instskip(NEXT) | instid1(VALU_DEP_1)
	v_add_f16_e32 v19, v3, v19
	v_fma_mixlo_f16 v19, v19, s8, 0 op_sel_hi:[1,0,0]
	s_delay_alu instid0(VALU_DEP_1) | instskip(NEXT) | instid1(VALU_DEP_1)
	v_cvt_f32_f16_e32 v19, v19
	v_cmp_ngt_f32_e64 s0, 0x3f200000, |v19|
	s_delay_alu instid0(VALU_DEP_1) | instskip(NEXT) | instid1(SALU_CYCLE_1)
	s_and_saveexec_b32 s10, s0
	s_xor_b32 s0, exec_lo, s10
	s_cbranch_execz .LBB63_21
; %bb.20:                               ;   in Loop: Header=BB63_3 Depth=1
	v_add_f32_e64 v20, |v19|, |v19|
	s_delay_alu instid0(VALU_DEP_1) | instskip(SKIP_1) | instid1(VALU_DEP_2)
	v_mul_f32_e32 v21, 0x3fb8aa3b, v20
	v_cmp_ngt_f32_e32 vcc_lo, 0xc2ce8ed0, v20
	v_rndne_f32_e32 v22, v21
	v_fma_f32 v23, 0x3fb8aa3b, v20, -v21
	s_delay_alu instid0(VALU_DEP_2) | instskip(NEXT) | instid1(VALU_DEP_2)
	v_sub_f32_e32 v21, v21, v22
	v_fmac_f32_e32 v23, 0x32a5705f, v20
	v_cvt_i32_f32_e32 v22, v22
	s_delay_alu instid0(VALU_DEP_2) | instskip(NEXT) | instid1(VALU_DEP_1)
	v_add_f32_e32 v21, v21, v23
	v_exp_f32_e32 v21, v21
	s_waitcnt_depctr 0xfff
	v_ldexp_f32 v21, v21, v22
	s_delay_alu instid0(VALU_DEP_1) | instskip(SKIP_1) | instid1(VALU_DEP_2)
	v_cndmask_b32_e32 v21, 0, v21, vcc_lo
	v_cmp_nlt_f32_e32 vcc_lo, 0x42b17218, v20
	v_cndmask_b32_e32 v20, 0x7f800000, v21, vcc_lo
	s_delay_alu instid0(VALU_DEP_1) | instskip(NEXT) | instid1(VALU_DEP_1)
	v_add_f32_e32 v20, 1.0, v20
	v_rcp_f32_e32 v20, v20
	s_waitcnt_depctr 0xfff
	v_fma_f32 v20, v20, -2.0, 1.0
.LBB63_21:                              ;   in Loop: Header=BB63_3 Depth=1
	s_and_not1_saveexec_b32 s0, s0
; %bb.22:                               ;   in Loop: Header=BB63_3 Depth=1
	v_mul_f32_e32 v20, v19, v19
	s_delay_alu instid0(VALU_DEP_1) | instskip(NEXT) | instid1(VALU_DEP_1)
	v_fmaak_f32 v21, s9, v20, 0x3ca908c9
	v_fmaak_f32 v21, v20, v21, 0xbd5c1c4e
	s_delay_alu instid0(VALU_DEP_1) | instskip(NEXT) | instid1(VALU_DEP_1)
	v_fmaak_f32 v21, v20, v21, 0x3e088382
	v_fmaak_f32 v21, v20, v21, 0xbeaaaa99
	s_delay_alu instid0(VALU_DEP_1) | instskip(NEXT) | instid1(VALU_DEP_1)
	v_mul_f32_e64 v21, |v19|, v21
	v_fma_f32 v20, v20, v21, |v19|
; %bb.23:                               ;   in Loop: Header=BB63_3 Depth=1
	s_or_b32 exec_lo, exec_lo, s0
	v_lshrrev_b32_e32 v21, 16, v3
                                        ; implicit-def: $vgpr23
	s_delay_alu instid0(VALU_DEP_1) | instskip(NEXT) | instid1(VALU_DEP_1)
	v_mul_f16_e32 v22, v21, v21
	v_mul_f16_e32 v22, v21, v22
	s_delay_alu instid0(VALU_DEP_1) | instskip(NEXT) | instid1(VALU_DEP_1)
	v_fma_mixlo_f16 v22, v22, s5, 0 op_sel_hi:[1,0,0]
	v_add_f16_e32 v22, v21, v22
	s_delay_alu instid0(VALU_DEP_1) | instskip(NEXT) | instid1(VALU_DEP_1)
	v_fma_mixlo_f16 v22, v22, s8, 0 op_sel_hi:[1,0,0]
	v_cvt_f32_f16_e32 v22, v22
	s_delay_alu instid0(VALU_DEP_1) | instskip(NEXT) | instid1(VALU_DEP_1)
	v_cmp_ngt_f32_e64 s0, 0x3f200000, |v22|
	s_and_saveexec_b32 s10, s0
	s_delay_alu instid0(SALU_CYCLE_1)
	s_xor_b32 s0, exec_lo, s10
	s_cbranch_execz .LBB63_25
; %bb.24:                               ;   in Loop: Header=BB63_3 Depth=1
	v_add_f32_e64 v23, |v22|, |v22|
	s_delay_alu instid0(VALU_DEP_1) | instskip(SKIP_1) | instid1(VALU_DEP_2)
	v_mul_f32_e32 v24, 0x3fb8aa3b, v23
	v_cmp_ngt_f32_e32 vcc_lo, 0xc2ce8ed0, v23
	v_rndne_f32_e32 v25, v24
	v_fma_f32 v26, 0x3fb8aa3b, v23, -v24
	s_delay_alu instid0(VALU_DEP_2) | instskip(NEXT) | instid1(VALU_DEP_2)
	v_sub_f32_e32 v24, v24, v25
	v_fmac_f32_e32 v26, 0x32a5705f, v23
	v_cvt_i32_f32_e32 v25, v25
	s_delay_alu instid0(VALU_DEP_2) | instskip(NEXT) | instid1(VALU_DEP_1)
	v_add_f32_e32 v24, v24, v26
	v_exp_f32_e32 v24, v24
	s_waitcnt_depctr 0xfff
	v_ldexp_f32 v24, v24, v25
	s_delay_alu instid0(VALU_DEP_1) | instskip(SKIP_1) | instid1(VALU_DEP_2)
	v_cndmask_b32_e32 v24, 0, v24, vcc_lo
	v_cmp_nlt_f32_e32 vcc_lo, 0x42b17218, v23
	v_cndmask_b32_e32 v23, 0x7f800000, v24, vcc_lo
	s_delay_alu instid0(VALU_DEP_1) | instskip(NEXT) | instid1(VALU_DEP_1)
	v_add_f32_e32 v23, 1.0, v23
	v_rcp_f32_e32 v23, v23
	s_waitcnt_depctr 0xfff
	v_fma_f32 v23, v23, -2.0, 1.0
.LBB63_25:                              ;   in Loop: Header=BB63_3 Depth=1
	s_and_not1_saveexec_b32 s0, s0
; %bb.26:                               ;   in Loop: Header=BB63_3 Depth=1
	v_mul_f32_e32 v23, v22, v22
	s_delay_alu instid0(VALU_DEP_1) | instskip(NEXT) | instid1(VALU_DEP_1)
	v_fmaak_f32 v24, s9, v23, 0x3ca908c9
	v_fmaak_f32 v24, v23, v24, 0xbd5c1c4e
	s_delay_alu instid0(VALU_DEP_1) | instskip(NEXT) | instid1(VALU_DEP_1)
	v_fmaak_f32 v24, v23, v24, 0x3e088382
	v_fmaak_f32 v24, v23, v24, 0xbeaaaa99
	s_delay_alu instid0(VALU_DEP_1) | instskip(NEXT) | instid1(VALU_DEP_1)
	v_mul_f32_e64 v24, |v22|, v24
	v_fma_f32 v23, v23, v24, |v22|
; %bb.27:                               ;   in Loop: Header=BB63_3 Depth=1
	s_or_b32 exec_lo, exec_lo, s0
	v_mul_f16_e32 v24, v4, v4
                                        ; implicit-def: $vgpr27
	s_delay_alu instid0(VALU_DEP_1) | instskip(NEXT) | instid1(VALU_DEP_1)
	v_mul_f16_e32 v24, v4, v24
	v_fma_mixlo_f16 v24, v24, s5, 0 op_sel_hi:[1,0,0]
	s_delay_alu instid0(VALU_DEP_1) | instskip(NEXT) | instid1(VALU_DEP_1)
	v_add_f16_e32 v24, v4, v24
	v_fma_mixlo_f16 v24, v24, s8, 0 op_sel_hi:[1,0,0]
	s_delay_alu instid0(VALU_DEP_1) | instskip(NEXT) | instid1(VALU_DEP_1)
	v_cvt_f32_f16_e32 v25, v24
	v_cmp_ngt_f32_e64 s0, 0x3f200000, |v25|
	s_delay_alu instid0(VALU_DEP_1) | instskip(NEXT) | instid1(SALU_CYCLE_1)
	s_and_saveexec_b32 s10, s0
	s_xor_b32 s0, exec_lo, s10
	s_cbranch_execz .LBB63_29
; %bb.28:                               ;   in Loop: Header=BB63_3 Depth=1
	v_add_f32_e64 v24, |v25|, |v25|
	s_delay_alu instid0(VALU_DEP_1) | instskip(SKIP_1) | instid1(VALU_DEP_2)
	v_mul_f32_e32 v26, 0x3fb8aa3b, v24
	v_cmp_ngt_f32_e32 vcc_lo, 0xc2ce8ed0, v24
	v_rndne_f32_e32 v27, v26
	v_fma_f32 v28, 0x3fb8aa3b, v24, -v26
	s_delay_alu instid0(VALU_DEP_2) | instskip(NEXT) | instid1(VALU_DEP_2)
	v_sub_f32_e32 v26, v26, v27
	v_fmac_f32_e32 v28, 0x32a5705f, v24
	v_cvt_i32_f32_e32 v27, v27
	s_delay_alu instid0(VALU_DEP_2) | instskip(NEXT) | instid1(VALU_DEP_1)
	v_add_f32_e32 v26, v26, v28
	v_exp_f32_e32 v26, v26
	s_waitcnt_depctr 0xfff
	v_ldexp_f32 v26, v26, v27
	s_delay_alu instid0(VALU_DEP_1) | instskip(SKIP_1) | instid1(VALU_DEP_2)
	v_cndmask_b32_e32 v26, 0, v26, vcc_lo
	v_cmp_nlt_f32_e32 vcc_lo, 0x42b17218, v24
	v_cndmask_b32_e32 v24, 0x7f800000, v26, vcc_lo
	s_delay_alu instid0(VALU_DEP_1) | instskip(NEXT) | instid1(VALU_DEP_1)
	v_add_f32_e32 v24, 1.0, v24
	v_rcp_f32_e32 v24, v24
	s_waitcnt_depctr 0xfff
	v_fma_f32 v27, v24, -2.0, 1.0
.LBB63_29:                              ;   in Loop: Header=BB63_3 Depth=1
	s_and_not1_saveexec_b32 s0, s0
; %bb.30:                               ;   in Loop: Header=BB63_3 Depth=1
	v_mul_f32_e32 v24, v25, v25
	s_delay_alu instid0(VALU_DEP_1) | instskip(NEXT) | instid1(VALU_DEP_1)
	v_fmaak_f32 v26, s9, v24, 0x3ca908c9
	v_fmaak_f32 v26, v24, v26, 0xbd5c1c4e
	s_delay_alu instid0(VALU_DEP_1) | instskip(NEXT) | instid1(VALU_DEP_1)
	v_fmaak_f32 v26, v24, v26, 0x3e088382
	v_fmaak_f32 v26, v24, v26, 0xbeaaaa99
	s_delay_alu instid0(VALU_DEP_1) | instskip(NEXT) | instid1(VALU_DEP_1)
	v_mul_f32_e64 v26, |v25|, v26
	v_fma_f32 v27, v24, v26, |v25|
; %bb.31:                               ;   in Loop: Header=BB63_3 Depth=1
	s_or_b32 exec_lo, exec_lo, s0
	v_lshrrev_b32_e32 v24, 16, v4
                                        ; implicit-def: $vgpr28
	s_delay_alu instid0(VALU_DEP_1) | instskip(NEXT) | instid1(VALU_DEP_1)
	v_mul_f16_e32 v26, v24, v24
	v_mul_f16_e32 v26, v24, v26
	s_delay_alu instid0(VALU_DEP_1) | instskip(NEXT) | instid1(VALU_DEP_1)
	v_fma_mixlo_f16 v26, v26, s5, 0 op_sel_hi:[1,0,0]
	v_add_f16_e32 v26, v24, v26
	s_delay_alu instid0(VALU_DEP_1) | instskip(NEXT) | instid1(VALU_DEP_1)
	v_fma_mixlo_f16 v26, v26, s8, 0 op_sel_hi:[1,0,0]
	v_cvt_f32_f16_e32 v26, v26
	s_delay_alu instid0(VALU_DEP_1) | instskip(NEXT) | instid1(VALU_DEP_1)
	v_cmp_ngt_f32_e64 s0, 0x3f200000, |v26|
	s_and_saveexec_b32 s10, s0
	s_delay_alu instid0(SALU_CYCLE_1)
	s_xor_b32 s0, exec_lo, s10
	s_cbranch_execz .LBB63_33
; %bb.32:                               ;   in Loop: Header=BB63_3 Depth=1
	v_add_f32_e64 v28, |v26|, |v26|
	s_delay_alu instid0(VALU_DEP_1) | instskip(SKIP_1) | instid1(VALU_DEP_2)
	v_mul_f32_e32 v29, 0x3fb8aa3b, v28
	v_cmp_ngt_f32_e32 vcc_lo, 0xc2ce8ed0, v28
	v_rndne_f32_e32 v30, v29
	v_fma_f32 v31, 0x3fb8aa3b, v28, -v29
	s_delay_alu instid0(VALU_DEP_2) | instskip(NEXT) | instid1(VALU_DEP_2)
	v_sub_f32_e32 v29, v29, v30
	v_fmac_f32_e32 v31, 0x32a5705f, v28
	v_cvt_i32_f32_e32 v30, v30
	s_delay_alu instid0(VALU_DEP_2) | instskip(NEXT) | instid1(VALU_DEP_1)
	v_add_f32_e32 v29, v29, v31
	v_exp_f32_e32 v29, v29
	s_waitcnt_depctr 0xfff
	v_ldexp_f32 v29, v29, v30
	s_delay_alu instid0(VALU_DEP_1) | instskip(SKIP_1) | instid1(VALU_DEP_2)
	v_cndmask_b32_e32 v29, 0, v29, vcc_lo
	v_cmp_nlt_f32_e32 vcc_lo, 0x42b17218, v28
	v_cndmask_b32_e32 v28, 0x7f800000, v29, vcc_lo
	s_delay_alu instid0(VALU_DEP_1) | instskip(NEXT) | instid1(VALU_DEP_1)
	v_add_f32_e32 v28, 1.0, v28
	v_rcp_f32_e32 v28, v28
	s_waitcnt_depctr 0xfff
	v_fma_f32 v28, v28, -2.0, 1.0
.LBB63_33:                              ;   in Loop: Header=BB63_3 Depth=1
	s_and_not1_saveexec_b32 s0, s0
	s_cbranch_execz .LBB63_2
; %bb.34:                               ;   in Loop: Header=BB63_3 Depth=1
	v_mul_f32_e32 v28, v26, v26
	s_delay_alu instid0(VALU_DEP_1) | instskip(NEXT) | instid1(VALU_DEP_1)
	v_fmaak_f32 v29, s9, v28, 0x3ca908c9
	v_fmaak_f32 v29, v28, v29, 0xbd5c1c4e
	s_delay_alu instid0(VALU_DEP_1) | instskip(NEXT) | instid1(VALU_DEP_1)
	v_fmaak_f32 v29, v28, v29, 0x3e088382
	v_fmaak_f32 v29, v28, v29, 0xbeaaaa99
	s_delay_alu instid0(VALU_DEP_1) | instskip(NEXT) | instid1(VALU_DEP_1)
	v_mul_f32_e64 v29, |v26|, v29
	v_fma_f32 v28, v28, v29, |v26|
	s_branch .LBB63_2
.LBB63_35:
	s_nop 0
	s_sendmsg sendmsg(MSG_DEALLOC_VGPRS)
	s_endpgm
	.section	.rodata,"a",@progbits
	.p2align	6, 0x0
	.amdhsa_kernel _ZN4vllm17activation_kernelIN3c104HalfETnPFT_RKS3_EXadL_ZNS_15gelu_new_kernelIS2_EES3_S5_EELb1ELb0EEEvPS3_PS4_i
		.amdhsa_group_segment_fixed_size 0
		.amdhsa_private_segment_fixed_size 0
		.amdhsa_kernarg_size 280
		.amdhsa_user_sgpr_count 15
		.amdhsa_user_sgpr_dispatch_ptr 0
		.amdhsa_user_sgpr_queue_ptr 0
		.amdhsa_user_sgpr_kernarg_segment_ptr 1
		.amdhsa_user_sgpr_dispatch_id 0
		.amdhsa_user_sgpr_private_segment_size 0
		.amdhsa_wavefront_size32 1
		.amdhsa_uses_dynamic_stack 0
		.amdhsa_enable_private_segment 0
		.amdhsa_system_sgpr_workgroup_id_x 1
		.amdhsa_system_sgpr_workgroup_id_y 0
		.amdhsa_system_sgpr_workgroup_id_z 0
		.amdhsa_system_sgpr_workgroup_info 0
		.amdhsa_system_vgpr_workitem_id 0
		.amdhsa_next_free_vgpr 32
		.amdhsa_next_free_sgpr 16
		.amdhsa_reserve_vcc 1
		.amdhsa_float_round_mode_32 0
		.amdhsa_float_round_mode_16_64 0
		.amdhsa_float_denorm_mode_32 3
		.amdhsa_float_denorm_mode_16_64 3
		.amdhsa_dx10_clamp 1
		.amdhsa_ieee_mode 1
		.amdhsa_fp16_overflow 0
		.amdhsa_workgroup_processor_mode 1
		.amdhsa_memory_ordered 1
		.amdhsa_forward_progress 0
		.amdhsa_shared_vgpr_count 0
		.amdhsa_exception_fp_ieee_invalid_op 0
		.amdhsa_exception_fp_denorm_src 0
		.amdhsa_exception_fp_ieee_div_zero 0
		.amdhsa_exception_fp_ieee_overflow 0
		.amdhsa_exception_fp_ieee_underflow 0
		.amdhsa_exception_fp_ieee_inexact 0
		.amdhsa_exception_int_div_zero 0
	.end_amdhsa_kernel
	.section	.text._ZN4vllm17activation_kernelIN3c104HalfETnPFT_RKS3_EXadL_ZNS_15gelu_new_kernelIS2_EES3_S5_EELb1ELb0EEEvPS3_PS4_i,"axG",@progbits,_ZN4vllm17activation_kernelIN3c104HalfETnPFT_RKS3_EXadL_ZNS_15gelu_new_kernelIS2_EES3_S5_EELb1ELb0EEEvPS3_PS4_i,comdat
.Lfunc_end63:
	.size	_ZN4vllm17activation_kernelIN3c104HalfETnPFT_RKS3_EXadL_ZNS_15gelu_new_kernelIS2_EES3_S5_EELb1ELb0EEEvPS3_PS4_i, .Lfunc_end63-_ZN4vllm17activation_kernelIN3c104HalfETnPFT_RKS3_EXadL_ZNS_15gelu_new_kernelIS2_EES3_S5_EELb1ELb0EEEvPS3_PS4_i
                                        ; -- End function
	.section	.AMDGPU.csdata,"",@progbits
; Kernel info:
; codeLenInByte = 2840
; NumSgprs: 18
; NumVgprs: 32
; ScratchSize: 0
; MemoryBound: 0
; FloatMode: 240
; IeeeMode: 1
; LDSByteSize: 0 bytes/workgroup (compile time only)
; SGPRBlocks: 2
; VGPRBlocks: 3
; NumSGPRsForWavesPerEU: 18
; NumVGPRsForWavesPerEU: 32
; Occupancy: 16
; WaveLimiterHint : 0
; COMPUTE_PGM_RSRC2:SCRATCH_EN: 0
; COMPUTE_PGM_RSRC2:USER_SGPR: 15
; COMPUTE_PGM_RSRC2:TRAP_HANDLER: 0
; COMPUTE_PGM_RSRC2:TGID_X_EN: 1
; COMPUTE_PGM_RSRC2:TGID_Y_EN: 0
; COMPUTE_PGM_RSRC2:TGID_Z_EN: 0
; COMPUTE_PGM_RSRC2:TIDIG_COMP_CNT: 0
	.section	.text._ZN4vllm17activation_kernelIN3c108BFloat16ETnPFT_RKS3_EXadL_ZNS_15gelu_new_kernelIS2_EES3_S5_EELb1ELb0EEEvPS3_PS4_i,"axG",@progbits,_ZN4vllm17activation_kernelIN3c108BFloat16ETnPFT_RKS3_EXadL_ZNS_15gelu_new_kernelIS2_EES3_S5_EELb1ELb0EEEvPS3_PS4_i,comdat
	.protected	_ZN4vllm17activation_kernelIN3c108BFloat16ETnPFT_RKS3_EXadL_ZNS_15gelu_new_kernelIS2_EES3_S5_EELb1ELb0EEEvPS3_PS4_i ; -- Begin function _ZN4vllm17activation_kernelIN3c108BFloat16ETnPFT_RKS3_EXadL_ZNS_15gelu_new_kernelIS2_EES3_S5_EELb1ELb0EEEvPS3_PS4_i
	.globl	_ZN4vllm17activation_kernelIN3c108BFloat16ETnPFT_RKS3_EXadL_ZNS_15gelu_new_kernelIS2_EES3_S5_EELb1ELb0EEEvPS3_PS4_i
	.p2align	8
	.type	_ZN4vllm17activation_kernelIN3c108BFloat16ETnPFT_RKS3_EXadL_ZNS_15gelu_new_kernelIS2_EES3_S5_EELb1ELb0EEEvPS3_PS4_i,@function
_ZN4vllm17activation_kernelIN3c108BFloat16ETnPFT_RKS3_EXadL_ZNS_15gelu_new_kernelIS2_EES3_S5_EELb1ELb0EEEvPS3_PS4_i: ; @_ZN4vllm17activation_kernelIN3c108BFloat16ETnPFT_RKS3_EXadL_ZNS_15gelu_new_kernelIS2_EES3_S5_EELb1ELb0EEEvPS3_PS4_i
; %bb.0:
	s_load_b32 s2, s[0:1], 0x10
	s_waitcnt lgkmcnt(0)
	s_ashr_i32 s3, s2, 31
	s_delay_alu instid0(SALU_CYCLE_1) | instskip(NEXT) | instid1(SALU_CYCLE_1)
	s_lshr_b32 s3, s3, 29
	s_add_i32 s3, s2, s3
	s_delay_alu instid0(SALU_CYCLE_1)
	s_ashr_i32 s4, s3, 3
	s_mov_b32 s3, exec_lo
	v_cmpx_gt_i32_e64 s4, v0
	s_cbranch_execz .LBB64_35
; %bb.1:
	s_clause 0x1
	s_load_b32 s3, s[0:1], 0x24
	s_load_b128 s[8:11], s[0:1], 0x0
	v_lshlrev_b32_e32 v1, 4, v0
	s_mul_i32 s0, s15, s2
	s_mov_b32 s1, 0
	s_mov_b32 s7, 0xbbbac73d
	s_waitcnt lgkmcnt(0)
	s_and_b32 s5, s3, 0xffff
	v_add_co_u32 v5, s2, s8, v1
	s_delay_alu instid0(VALU_DEP_1) | instskip(SKIP_1) | instid1(VALU_DEP_1)
	v_add_co_ci_u32_e64 v6, null, s9, 0, s2
	v_add_co_u32 v7, s2, s10, v1
	v_add_co_ci_u32_e64 v8, null, s11, 0, s2
	s_lshl_b64 s[2:3], s[0:1], 1
	s_lshl_b32 s6, s5, 4
	s_branch .LBB64_3
.LBB64_2:                               ;   in Loop: Header=BB64_3 Depth=1
	s_or_b32 exec_lo, exec_lo, s0
	v_bfi_b32 v27, 0x7fffffff, v27, v28
	v_bfi_b32 v24, 0x7fffffff, v24, v25
	;; [unrolled: 1-line block ×4, first 2 shown]
	v_dual_mul_f32 v26, 0.5, v26 :: v_dual_mul_f32 v19, 0.5, v19
	v_bfe_u32 v25, v27, 16, 1
	v_bfe_u32 v21, v24, 16, 1
	;; [unrolled: 1-line block ×3, first 2 shown]
	v_bfi_b32 v15, 0x7fffffff, v15, v16
	v_bfe_u32 v16, v26, 16, 1
	v_add3_u32 v18, v27, v25, 0x7fff
	v_add3_u32 v21, v24, v21, 0x7fff
	v_mul_f32_e32 v22, 0.5, v22
	v_cmp_o_f32_e32 vcc_lo, v27, v27
	v_add3_u32 v27, v20, v28, 0x7fff
	v_and_b32_e32 v18, 0xffff0000, v18
	v_dual_mul_f32 v2, 0.5, v2 :: v_dual_and_b32 v21, 0xffff0000, v21
	v_bfe_u32 v25, v22, 16, 1
	v_bfe_u32 v29, v19, 16, 1
	s_delay_alu instid0(VALU_DEP_4) | instskip(SKIP_2) | instid1(VALU_DEP_3)
	v_dual_add_f32 v18, 1.0, v18 :: v_dual_and_b32 v27, 0xffff0000, v27
	v_bfe_u32 v30, v17, 16, 1
	v_add3_u32 v16, v26, v16, 0x7fff
	v_dual_add_f32 v21, 1.0, v21 :: v_dual_cndmask_b32 v18, 0x7fc00000, v18
	v_mul_f32_e32 v1, 0.5, v1
	v_cmp_o_f32_e32 vcc_lo, v24, v24
	v_add3_u32 v25, v22, v25, 0x7fff
	v_add3_u32 v28, v19, v29, 0x7fff
	;; [unrolled: 1-line block ×3, first 2 shown]
	v_bfe_u32 v30, v18, 16, 1
	v_and_b32_e32 v16, 0xffff0000, v16
	v_cndmask_b32_e32 v21, 0x7fc00000, v21, vcc_lo
	v_cmp_o_f32_e32 vcc_lo, v26, v26
	v_dual_add_f32 v24, 1.0, v27 :: v_dual_and_b32 v25, 0xffff0000, v25
	v_add3_u32 v30, v18, v30, 0x7fff
	v_bfi_b32 v12, 0x7fffffff, v12, v13
	v_dual_mul_f32 v13, 0.5, v14 :: v_dual_cndmask_b32 v16, 0x7fc00000, v16
	v_cmp_o_f32_e32 vcc_lo, v20, v20
	s_delay_alu instid0(VALU_DEP_4)
	v_dual_mul_f32 v9, 0.5, v9 :: v_dual_and_b32 v26, 0xffff0000, v30
	v_mul_f32_e32 v3, 0.5, v3
	v_bfi_b32 v10, 0x7fffffff, v10, v11
	v_cndmask_b32_e32 v20, 0x7fc00000, v24, vcc_lo
	v_cmp_o_f32_e32 vcc_lo, v18, v18
	v_bfi_b32 v4, 0x7fffffff, v4, v23
	v_add_nc_u32_e32 v0, s5, v0
	v_add_co_u32 v7, s0, v7, s6
	v_cndmask_b32_e32 v18, 0x7fc00000, v26, vcc_lo
	v_cmp_o_f32_e32 vcc_lo, v22, v22
	v_and_b32_e32 v26, 0xffff0000, v28
	v_bfe_u32 v28, v20, 16, 1
	v_add_co_ci_u32_e64 v8, s0, 0, v8, s0
	v_mul_f32_e32 v16, v16, v18
	v_bfe_u32 v27, v21, 16, 1
	v_cndmask_b32_e32 v22, 0x7fc00000, v25, vcc_lo
	v_cmp_o_f32_e32 vcc_lo, v21, v21
	s_delay_alu instid0(VALU_DEP_4) | instskip(NEXT) | instid1(VALU_DEP_4)
	v_bfe_u32 v25, v16, 16, 1
	v_add3_u32 v24, v21, v27, 0x7fff
	s_delay_alu instid0(VALU_DEP_1) | instskip(SKIP_1) | instid1(VALU_DEP_2)
	v_and_b32_e32 v18, 0xffff0000, v24
	v_add3_u32 v24, v20, v28, 0x7fff
	v_cndmask_b32_e32 v18, 0x7fc00000, v18, vcc_lo
	v_cmp_o_f32_e32 vcc_lo, v19, v19
	v_and_b32_e32 v27, 0xffff0000, v29
	s_delay_alu instid0(VALU_DEP_4) | instskip(SKIP_2) | instid1(VALU_DEP_4)
	v_and_b32_e32 v21, 0xffff0000, v24
	v_add3_u32 v24, v16, v25, 0x7fff
	v_mul_f32_e32 v18, v22, v18
	v_dual_cndmask_b32 v19, 0x7fc00000, v26 :: v_dual_add_f32 v22, 1.0, v27
	v_cmp_o_f32_e32 vcc_lo, v20, v20
	v_cndmask_b32_e32 v20, 0x7fc00000, v21, vcc_lo
	v_cmp_o_f32_e32 vcc_lo, v17, v17
	v_lshrrev_b32_e32 v21, 16, v24
	v_bfe_u32 v24, v18, 16, 1
	s_delay_alu instid0(VALU_DEP_4) | instskip(SKIP_3) | instid1(VALU_DEP_4)
	v_mul_f32_e32 v19, v19, v20
	v_cndmask_b32_e32 v17, 0x7fc00000, v22, vcc_lo
	v_cmp_o_f32_e32 vcc_lo, v16, v16
	v_bfe_u32 v20, v2, 16, 1
	v_bfe_u32 v25, v19, 16, 1
	v_cndmask_b32_e32 v16, 0x7fc0, v21, vcc_lo
	v_add3_u32 v21, v18, v24, 0x7fff
	v_bfe_u32 v24, v15, 16, 1
	v_add3_u32 v20, v2, v20, 0x7fff
	v_cmp_o_f32_e32 vcc_lo, v18, v18
	s_delay_alu instid0(VALU_DEP_4) | instskip(NEXT) | instid1(VALU_DEP_4)
	v_lshrrev_b32_e32 v21, 16, v21
	v_add3_u32 v24, v15, v24, 0x7fff
	s_delay_alu instid0(VALU_DEP_4) | instskip(NEXT) | instid1(VALU_DEP_3)
	v_and_b32_e32 v20, 0xffff0000, v20
	v_cndmask_b32_e32 v18, 0x7fc0, v21, vcc_lo
	s_delay_alu instid0(VALU_DEP_3) | instskip(SKIP_2) | instid1(VALU_DEP_3)
	v_and_b32_e32 v24, 0xffff0000, v24
	v_cmp_o_f32_e32 vcc_lo, v2, v2
	v_add3_u32 v21, v19, v25, 0x7fff
	v_add_f32_e32 v14, 1.0, v24
	v_bfe_u32 v22, v17, 16, 1
	v_cndmask_b32_e32 v2, 0x7fc00000, v20, vcc_lo
	v_bfe_u32 v20, v12, 16, 1
	v_cmp_o_f32_e32 vcc_lo, v17, v17
	v_lshrrev_b32_e32 v21, 16, v21
	v_add3_u32 v22, v17, v22, 0x7fff
	s_delay_alu instid0(VALU_DEP_4) | instskip(NEXT) | instid1(VALU_DEP_2)
	v_add3_u32 v20, v12, v20, 0x7fff
	v_and_b32_e32 v22, 0xffff0000, v22
	s_delay_alu instid0(VALU_DEP_2) | instskip(NEXT) | instid1(VALU_DEP_2)
	v_and_b32_e32 v20, 0xffff0000, v20
	v_cndmask_b32_e32 v17, 0x7fc00000, v22, vcc_lo
	v_cmp_o_f32_e32 vcc_lo, v15, v15
	s_delay_alu instid0(VALU_DEP_3) | instskip(SKIP_1) | instid1(VALU_DEP_4)
	v_add_f32_e32 v20, 1.0, v20
	v_bfe_u32 v15, v13, 16, 1
	v_mul_f32_e32 v2, v2, v17
	v_cndmask_b32_e32 v14, 0x7fc00000, v14, vcc_lo
	v_cmp_o_f32_e32 vcc_lo, v19, v19
	s_delay_alu instid0(VALU_DEP_4) | instskip(NEXT) | instid1(VALU_DEP_3)
	v_add3_u32 v15, v13, v15, 0x7fff
	v_bfe_u32 v17, v14, 16, 1
	v_cndmask_b32_e32 v19, 0x7fc0, v21, vcc_lo
	v_cmp_o_f32_e32 vcc_lo, v12, v12
	s_delay_alu instid0(VALU_DEP_4) | instskip(SKIP_4) | instid1(VALU_DEP_3)
	v_and_b32_e32 v15, 0xffff0000, v15
	v_bfe_u32 v21, v2, 16, 1
	v_add3_u32 v17, v14, v17, 0x7fff
	v_cndmask_b32_e32 v12, 0x7fc00000, v20, vcc_lo
	v_cmp_o_f32_e32 vcc_lo, v13, v13
	v_and_b32_e32 v11, 0xffff0000, v17
	v_bfe_u32 v17, v10, 16, 1
	s_delay_alu instid0(VALU_DEP_4)
	v_bfe_u32 v20, v12, 16, 1
	v_cndmask_b32_e32 v13, 0x7fc00000, v15, vcc_lo
	v_bfe_u32 v15, v1, 16, 1
	v_cmp_o_f32_e32 vcc_lo, v14, v14
	v_add3_u32 v17, v10, v17, 0x7fff
	v_bfe_u32 v14, v4, 16, 1
	v_add3_u32 v20, v12, v20, 0x7fff
	v_add3_u32 v15, v1, v15, 0x7fff
	v_cndmask_b32_e32 v11, 0x7fc00000, v11, vcc_lo
	v_and_b32_e32 v17, 0xffff0000, v17
	v_cmp_o_f32_e32 vcc_lo, v10, v10
	s_delay_alu instid0(VALU_DEP_3) | instskip(SKIP_1) | instid1(VALU_DEP_4)
	v_mul_f32_e32 v11, v13, v11
	v_add3_u32 v13, v4, v14, 0x7fff
	v_dual_add_f32 v15, 1.0, v17 :: v_dual_and_b32 v14, 0xffff0000, v15
	v_and_b32_e32 v17, 0xffff0000, v20
	s_delay_alu instid0(VALU_DEP_3) | instskip(NEXT) | instid1(VALU_DEP_3)
	v_and_b32_e32 v13, 0xffff0000, v13
	v_cndmask_b32_e32 v10, 0x7fc00000, v15, vcc_lo
	v_cmp_o_f32_e32 vcc_lo, v1, v1
	s_delay_alu instid0(VALU_DEP_3) | instskip(NEXT) | instid1(VALU_DEP_3)
	v_add_f32_e32 v13, 1.0, v13
	v_bfe_u32 v15, v10, 16, 1
	v_cndmask_b32_e32 v1, 0x7fc00000, v14, vcc_lo
	v_cmp_o_f32_e32 vcc_lo, v4, v4
	v_bfe_u32 v14, v9, 16, 1
	s_delay_alu instid0(VALU_DEP_4) | instskip(SKIP_2) | instid1(VALU_DEP_4)
	v_add3_u32 v15, v10, v15, 0x7fff
	v_cndmask_b32_e32 v4, 0x7fc00000, v13, vcc_lo
	v_cmp_o_f32_e32 vcc_lo, v12, v12
	v_add3_u32 v13, v9, v14, 0x7fff
	v_bfe_u32 v14, v3, 16, 1
	v_and_b32_e32 v15, 0xffff0000, v15
	v_cndmask_b32_e32 v12, 0x7fc00000, v17, vcc_lo
	v_cmp_o_f32_e32 vcc_lo, v9, v9
	v_bfe_u32 v17, v4, 16, 1
	s_delay_alu instid0(VALU_DEP_3) | instskip(SKIP_1) | instid1(VALU_DEP_3)
	v_dual_mul_f32 v1, v1, v12 :: v_dual_and_b32 v12, 0xffff0000, v13
	v_add3_u32 v13, v3, v14, 0x7fff
	v_add3_u32 v14, v4, v17, 0x7fff
	s_delay_alu instid0(VALU_DEP_3) | instskip(SKIP_1) | instid1(VALU_DEP_4)
	v_cndmask_b32_e32 v9, 0x7fc00000, v12, vcc_lo
	v_cmp_o_f32_e32 vcc_lo, v10, v10
	v_and_b32_e32 v12, 0xffff0000, v13
	s_delay_alu instid0(VALU_DEP_4) | instskip(SKIP_3) | instid1(VALU_DEP_2)
	v_and_b32_e32 v13, 0xffff0000, v14
	v_bfe_u32 v14, v1, 16, 1
	v_cndmask_b32_e32 v10, 0x7fc00000, v15, vcc_lo
	v_cmp_o_f32_e32 vcc_lo, v3, v3
	v_mul_f32_e32 v9, v9, v10
	v_cndmask_b32_e32 v3, 0x7fc00000, v12, vcc_lo
	v_cmp_o_f32_e32 vcc_lo, v4, v4
	v_add3_u32 v12, v2, v21, 0x7fff
	v_cndmask_b32_e32 v4, 0x7fc00000, v13, vcc_lo
	v_bfe_u32 v13, v11, 16, 1
	v_cmp_o_f32_e32 vcc_lo, v2, v2
	s_delay_alu instid0(VALU_DEP_3) | instskip(SKIP_1) | instid1(VALU_DEP_4)
	v_mul_f32_e32 v3, v3, v4
	v_lshrrev_b32_e32 v4, 16, v12
	v_add3_u32 v10, v11, v13, 0x7fff
	v_add3_u32 v12, v1, v14, 0x7fff
	v_bfe_u32 v13, v9, 16, 1
	v_bfe_u32 v14, v3, 16, 1
	v_cndmask_b32_e32 v2, 0x7fc0, v4, vcc_lo
	v_lshrrev_b32_e32 v4, 16, v10
	v_cmp_o_f32_e32 vcc_lo, v11, v11
	v_add3_u32 v10, v9, v13, 0x7fff
	v_lshrrev_b32_e32 v12, 16, v12
	v_add3_u32 v13, v3, v14, 0x7fff
	v_cndmask_b32_e32 v11, 0x7fc0, v4, vcc_lo
	v_cmp_o_f32_e32 vcc_lo, v1, v1
	v_lshrrev_b32_e32 v4, 16, v10
	s_delay_alu instid0(VALU_DEP_4) | instskip(NEXT) | instid1(VALU_DEP_4)
	v_lshrrev_b32_e32 v10, 16, v13
	v_perm_b32 v2, v2, v11, 0x5040100
	v_cndmask_b32_e32 v1, 0x7fc0, v12, vcc_lo
	v_cmp_o_f32_e32 vcc_lo, v9, v9
	v_cndmask_b32_e32 v12, 0x7fc0, v4, vcc_lo
	v_cmp_o_f32_e32 vcc_lo, v3, v3
	s_delay_alu instid0(VALU_DEP_2)
	v_perm_b32 v1, v1, v12, 0x5040100
	v_cndmask_b32_e32 v3, 0x7fc0, v10, vcc_lo
	v_add_co_u32 v9, vcc_lo, v5, s2
	v_add_co_ci_u32_e32 v10, vcc_lo, s3, v6, vcc_lo
	v_add_co_u32 v5, vcc_lo, v5, s6
	v_add_co_ci_u32_e32 v6, vcc_lo, 0, v6, vcc_lo
	v_cmp_le_i32_e32 vcc_lo, s4, v0
	v_perm_b32 v4, v3, v16, 0x5040100
	v_perm_b32 v3, v18, v19, 0x5040100
	s_or_b32 s1, vcc_lo, s1
	global_store_b128 v[9:10], v[1:4], off
	s_and_not1_b32 exec_lo, exec_lo, s1
	s_cbranch_execz .LBB64_35
.LBB64_3:                               ; =>This Inner Loop Header: Depth=1
	v_add_co_u32 v1, vcc_lo, v7, s2
	v_add_co_ci_u32_e32 v2, vcc_lo, s3, v8, vcc_lo
	s_mov_b32 s8, exec_lo
	global_load_b128 v[1:4], v[1:2], off
	s_waitcnt vmcnt(0)
	v_lshlrev_b32_e32 v9, 16, v1
	s_delay_alu instid0(VALU_DEP_1) | instskip(NEXT) | instid1(VALU_DEP_1)
	v_mul_f32_e32 v10, v9, v9
	v_bfe_u32 v11, v10, 16, 1
	s_delay_alu instid0(VALU_DEP_1) | instskip(NEXT) | instid1(VALU_DEP_1)
	v_add3_u32 v11, v10, v11, 0x7fff
	v_and_b32_e32 v11, 0xffff0000, v11
	v_cmp_o_f32_e32 vcc_lo, v10, v10
	s_delay_alu instid0(VALU_DEP_2) | instskip(NEXT) | instid1(VALU_DEP_1)
	v_cndmask_b32_e32 v10, 0x7fc00000, v11, vcc_lo
	v_mul_f32_e32 v10, v10, v9
	s_delay_alu instid0(VALU_DEP_1) | instskip(NEXT) | instid1(VALU_DEP_1)
	v_bfe_u32 v11, v10, 16, 1
	v_add3_u32 v11, v10, v11, 0x7fff
	s_delay_alu instid0(VALU_DEP_1) | instskip(SKIP_1) | instid1(VALU_DEP_2)
	v_and_b32_e32 v11, 0xffff0000, v11
	v_cmp_o_f32_e32 vcc_lo, v10, v10
	v_mul_f32_e32 v11, 0x3d372713, v11
	s_delay_alu instid0(VALU_DEP_1) | instskip(NEXT) | instid1(VALU_DEP_1)
	v_cndmask_b32_e32 v10, 0x7fc00000, v11, vcc_lo
	v_bfe_u32 v11, v10, 16, 1
	v_cmp_o_f32_e32 vcc_lo, v10, v10
	s_delay_alu instid0(VALU_DEP_2) | instskip(NEXT) | instid1(VALU_DEP_1)
	v_add3_u32 v11, v10, v11, 0x7fff
	v_and_b32_e32 v11, 0xffff0000, v11
	s_delay_alu instid0(VALU_DEP_1) | instskip(NEXT) | instid1(VALU_DEP_1)
	v_cndmask_b32_e32 v10, 0x7fc00000, v11, vcc_lo
	v_add_f32_e32 v10, v10, v9
	s_delay_alu instid0(VALU_DEP_1) | instskip(SKIP_1) | instid1(VALU_DEP_2)
	v_bfe_u32 v11, v10, 16, 1
	v_cmp_o_f32_e32 vcc_lo, v10, v10
	v_add3_u32 v11, v10, v11, 0x7fff
	s_delay_alu instid0(VALU_DEP_1) | instskip(NEXT) | instid1(VALU_DEP_1)
	v_and_b32_e32 v11, 0xffff0000, v11
	v_mul_f32_e32 v11, 0x3f4c422a, v11
	s_delay_alu instid0(VALU_DEP_1) | instskip(NEXT) | instid1(VALU_DEP_1)
	v_cndmask_b32_e32 v10, 0x7fc00000, v11, vcc_lo
	v_bfe_u32 v11, v10, 16, 1
	v_cmp_u_f32_e32 vcc_lo, v10, v10
	s_delay_alu instid0(VALU_DEP_2) | instskip(NEXT) | instid1(VALU_DEP_1)
	v_add3_u32 v11, v10, v11, 0x7fff
	v_and_b32_e32 v11, 0xffff0000, v11
	s_delay_alu instid0(VALU_DEP_1) | instskip(NEXT) | instid1(VALU_DEP_1)
	v_cndmask_b32_e64 v10, |v11|, 0x7fc00000, vcc_lo
	v_cmpx_ngt_f32_e32 0x3f200000, v10
	s_xor_b32 s8, exec_lo, s8
	s_cbranch_execz .LBB64_5
; %bb.4:                                ;   in Loop: Header=BB64_3 Depth=1
	v_add_f32_e32 v10, v10, v10
	s_delay_alu instid0(VALU_DEP_1) | instskip(SKIP_1) | instid1(VALU_DEP_2)
	v_mul_f32_e32 v12, 0x3fb8aa3b, v10
	v_cmp_ngt_f32_e64 s0, 0xc2ce8ed0, v10
	v_rndne_f32_e32 v13, v12
	v_fma_f32 v14, 0x3fb8aa3b, v10, -v12
	s_delay_alu instid0(VALU_DEP_2) | instskip(NEXT) | instid1(VALU_DEP_2)
	v_sub_f32_e32 v12, v12, v13
	v_fmac_f32_e32 v14, 0x32a5705f, v10
	v_cvt_i32_f32_e32 v13, v13
	s_delay_alu instid0(VALU_DEP_2) | instskip(NEXT) | instid1(VALU_DEP_1)
	v_add_f32_e32 v12, v12, v14
	v_exp_f32_e32 v12, v12
	s_waitcnt_depctr 0xfff
	v_ldexp_f32 v12, v12, v13
	s_delay_alu instid0(VALU_DEP_1) | instskip(SKIP_1) | instid1(VALU_DEP_1)
	v_cndmask_b32_e64 v12, 0, v12, s0
	v_cmp_nlt_f32_e64 s0, 0x42b17218, v10
	v_cndmask_b32_e64 v10, 0x7f800000, v12, s0
	s_delay_alu instid0(VALU_DEP_1) | instskip(NEXT) | instid1(VALU_DEP_1)
	v_add_f32_e32 v10, 1.0, v10
	v_rcp_f32_e32 v10, v10
	s_waitcnt_depctr 0xfff
	v_fma_f32 v10, v10, -2.0, 1.0
.LBB64_5:                               ;   in Loop: Header=BB64_3 Depth=1
	s_or_saveexec_b32 s0, s8
	v_cndmask_b32_e64 v11, v11, 0x7fc00000, vcc_lo
	s_xor_b32 exec_lo, exec_lo, s0
; %bb.6:                                ;   in Loop: Header=BB64_3 Depth=1
	s_delay_alu instid0(VALU_DEP_1) | instskip(NEXT) | instid1(VALU_DEP_1)
	v_mul_f32_e32 v12, v11, v11
	v_fmaak_f32 v13, s7, v12, 0x3ca908c9
	s_delay_alu instid0(VALU_DEP_1) | instskip(NEXT) | instid1(VALU_DEP_1)
	v_fmaak_f32 v13, v12, v13, 0xbd5c1c4e
	v_fmaak_f32 v13, v12, v13, 0x3e088382
	s_delay_alu instid0(VALU_DEP_1) | instskip(NEXT) | instid1(VALU_DEP_1)
	v_fmaak_f32 v13, v12, v13, 0xbeaaaa99
	v_mul_f32_e32 v13, v10, v13
	s_delay_alu instid0(VALU_DEP_1)
	v_fmac_f32_e32 v10, v12, v13
; %bb.7:                                ;   in Loop: Header=BB64_3 Depth=1
	s_or_b32 exec_lo, exec_lo, s0
	v_and_b32_e32 v1, 0xffff0000, v1
	s_mov_b32 s8, exec_lo
	s_delay_alu instid0(VALU_DEP_1) | instskip(NEXT) | instid1(VALU_DEP_1)
	v_mul_f32_e32 v12, v1, v1
	v_bfe_u32 v13, v12, 16, 1
	v_cmp_o_f32_e32 vcc_lo, v12, v12
	s_delay_alu instid0(VALU_DEP_2) | instskip(NEXT) | instid1(VALU_DEP_1)
	v_add3_u32 v13, v12, v13, 0x7fff
	v_and_b32_e32 v13, 0xffff0000, v13
	s_delay_alu instid0(VALU_DEP_1) | instskip(NEXT) | instid1(VALU_DEP_1)
	v_cndmask_b32_e32 v12, 0x7fc00000, v13, vcc_lo
	v_mul_f32_e32 v12, v12, v1
	s_delay_alu instid0(VALU_DEP_1) | instskip(SKIP_1) | instid1(VALU_DEP_2)
	v_bfe_u32 v13, v12, 16, 1
	v_cmp_o_f32_e32 vcc_lo, v12, v12
	v_add3_u32 v13, v12, v13, 0x7fff
	s_delay_alu instid0(VALU_DEP_1) | instskip(NEXT) | instid1(VALU_DEP_1)
	v_and_b32_e32 v13, 0xffff0000, v13
	v_mul_f32_e32 v13, 0x3d372713, v13
	s_delay_alu instid0(VALU_DEP_1) | instskip(NEXT) | instid1(VALU_DEP_1)
	v_cndmask_b32_e32 v12, 0x7fc00000, v13, vcc_lo
	v_bfe_u32 v13, v12, 16, 1
	v_cmp_o_f32_e32 vcc_lo, v12, v12
	s_delay_alu instid0(VALU_DEP_2) | instskip(NEXT) | instid1(VALU_DEP_1)
	v_add3_u32 v13, v12, v13, 0x7fff
	v_and_b32_e32 v13, 0xffff0000, v13
	s_delay_alu instid0(VALU_DEP_1) | instskip(NEXT) | instid1(VALU_DEP_1)
	v_cndmask_b32_e32 v12, 0x7fc00000, v13, vcc_lo
	v_add_f32_e32 v12, v12, v1
	s_delay_alu instid0(VALU_DEP_1) | instskip(SKIP_1) | instid1(VALU_DEP_2)
	v_bfe_u32 v13, v12, 16, 1
	v_cmp_o_f32_e32 vcc_lo, v12, v12
	v_add3_u32 v13, v12, v13, 0x7fff
	s_delay_alu instid0(VALU_DEP_1) | instskip(NEXT) | instid1(VALU_DEP_1)
	v_and_b32_e32 v13, 0xffff0000, v13
	v_mul_f32_e32 v13, 0x3f4c422a, v13
	s_delay_alu instid0(VALU_DEP_1) | instskip(NEXT) | instid1(VALU_DEP_1)
	v_cndmask_b32_e32 v12, 0x7fc00000, v13, vcc_lo
	v_bfe_u32 v13, v12, 16, 1
	v_cmp_u_f32_e32 vcc_lo, v12, v12
	s_delay_alu instid0(VALU_DEP_2) | instskip(NEXT) | instid1(VALU_DEP_1)
	v_add3_u32 v13, v12, v13, 0x7fff
	v_and_b32_e32 v13, 0xffff0000, v13
	s_delay_alu instid0(VALU_DEP_1) | instskip(NEXT) | instid1(VALU_DEP_1)
	v_cndmask_b32_e64 v12, |v13|, 0x7fc00000, vcc_lo
	v_cmpx_ngt_f32_e32 0x3f200000, v12
	s_xor_b32 s8, exec_lo, s8
	s_cbranch_execz .LBB64_9
; %bb.8:                                ;   in Loop: Header=BB64_3 Depth=1
	v_add_f32_e32 v12, v12, v12
	s_delay_alu instid0(VALU_DEP_1) | instskip(SKIP_1) | instid1(VALU_DEP_2)
	v_mul_f32_e32 v14, 0x3fb8aa3b, v12
	v_cmp_ngt_f32_e64 s0, 0xc2ce8ed0, v12
	v_rndne_f32_e32 v15, v14
	v_fma_f32 v16, 0x3fb8aa3b, v12, -v14
	s_delay_alu instid0(VALU_DEP_2) | instskip(NEXT) | instid1(VALU_DEP_2)
	v_sub_f32_e32 v14, v14, v15
	v_fmac_f32_e32 v16, 0x32a5705f, v12
	v_cvt_i32_f32_e32 v15, v15
	s_delay_alu instid0(VALU_DEP_2) | instskip(NEXT) | instid1(VALU_DEP_1)
	v_add_f32_e32 v14, v14, v16
	v_exp_f32_e32 v14, v14
	s_waitcnt_depctr 0xfff
	v_ldexp_f32 v14, v14, v15
	s_delay_alu instid0(VALU_DEP_1) | instskip(SKIP_1) | instid1(VALU_DEP_1)
	v_cndmask_b32_e64 v14, 0, v14, s0
	v_cmp_nlt_f32_e64 s0, 0x42b17218, v12
	v_cndmask_b32_e64 v12, 0x7f800000, v14, s0
	s_delay_alu instid0(VALU_DEP_1) | instskip(NEXT) | instid1(VALU_DEP_1)
	v_add_f32_e32 v12, 1.0, v12
	v_rcp_f32_e32 v12, v12
	s_waitcnt_depctr 0xfff
	v_fma_f32 v12, v12, -2.0, 1.0
.LBB64_9:                               ;   in Loop: Header=BB64_3 Depth=1
	s_or_saveexec_b32 s0, s8
	v_cndmask_b32_e64 v13, v13, 0x7fc00000, vcc_lo
	s_xor_b32 exec_lo, exec_lo, s0
; %bb.10:                               ;   in Loop: Header=BB64_3 Depth=1
	s_delay_alu instid0(VALU_DEP_1) | instskip(NEXT) | instid1(VALU_DEP_1)
	v_mul_f32_e32 v14, v13, v13
	v_fmaak_f32 v15, s7, v14, 0x3ca908c9
	s_delay_alu instid0(VALU_DEP_1) | instskip(NEXT) | instid1(VALU_DEP_1)
	v_fmaak_f32 v15, v14, v15, 0xbd5c1c4e
	v_fmaak_f32 v15, v14, v15, 0x3e088382
	s_delay_alu instid0(VALU_DEP_1) | instskip(NEXT) | instid1(VALU_DEP_1)
	v_fmaak_f32 v15, v14, v15, 0xbeaaaa99
	v_mul_f32_e32 v15, v12, v15
	s_delay_alu instid0(VALU_DEP_1)
	v_fmac_f32_e32 v12, v14, v15
; %bb.11:                               ;   in Loop: Header=BB64_3 Depth=1
	s_or_b32 exec_lo, exec_lo, s0
	v_lshlrev_b32_e32 v14, 16, v2
	s_mov_b32 s8, exec_lo
	s_delay_alu instid0(VALU_DEP_1) | instskip(NEXT) | instid1(VALU_DEP_1)
	v_mul_f32_e32 v15, v14, v14
	v_bfe_u32 v16, v15, 16, 1
	s_delay_alu instid0(VALU_DEP_1) | instskip(NEXT) | instid1(VALU_DEP_1)
	v_add3_u32 v16, v15, v16, 0x7fff
	v_and_b32_e32 v16, 0xffff0000, v16
	v_cmp_o_f32_e32 vcc_lo, v15, v15
	s_delay_alu instid0(VALU_DEP_2) | instskip(NEXT) | instid1(VALU_DEP_1)
	v_cndmask_b32_e32 v15, 0x7fc00000, v16, vcc_lo
	v_mul_f32_e32 v15, v15, v14
	s_delay_alu instid0(VALU_DEP_1) | instskip(NEXT) | instid1(VALU_DEP_1)
	v_bfe_u32 v16, v15, 16, 1
	v_add3_u32 v16, v15, v16, 0x7fff
	s_delay_alu instid0(VALU_DEP_1) | instskip(SKIP_1) | instid1(VALU_DEP_2)
	v_and_b32_e32 v16, 0xffff0000, v16
	v_cmp_o_f32_e32 vcc_lo, v15, v15
	v_mul_f32_e32 v16, 0x3d372713, v16
	s_delay_alu instid0(VALU_DEP_1) | instskip(NEXT) | instid1(VALU_DEP_1)
	v_cndmask_b32_e32 v15, 0x7fc00000, v16, vcc_lo
	v_bfe_u32 v16, v15, 16, 1
	v_cmp_o_f32_e32 vcc_lo, v15, v15
	s_delay_alu instid0(VALU_DEP_2) | instskip(NEXT) | instid1(VALU_DEP_1)
	v_add3_u32 v16, v15, v16, 0x7fff
	v_and_b32_e32 v16, 0xffff0000, v16
	s_delay_alu instid0(VALU_DEP_1) | instskip(NEXT) | instid1(VALU_DEP_1)
	v_cndmask_b32_e32 v15, 0x7fc00000, v16, vcc_lo
	v_add_f32_e32 v15, v15, v14
	s_delay_alu instid0(VALU_DEP_1) | instskip(SKIP_1) | instid1(VALU_DEP_2)
	v_bfe_u32 v16, v15, 16, 1
	v_cmp_o_f32_e32 vcc_lo, v15, v15
	v_add3_u32 v16, v15, v16, 0x7fff
	s_delay_alu instid0(VALU_DEP_1) | instskip(NEXT) | instid1(VALU_DEP_1)
	v_and_b32_e32 v16, 0xffff0000, v16
	v_mul_f32_e32 v16, 0x3f4c422a, v16
	s_delay_alu instid0(VALU_DEP_1) | instskip(NEXT) | instid1(VALU_DEP_1)
	v_cndmask_b32_e32 v15, 0x7fc00000, v16, vcc_lo
	v_bfe_u32 v16, v15, 16, 1
	v_cmp_u_f32_e32 vcc_lo, v15, v15
	s_delay_alu instid0(VALU_DEP_2) | instskip(NEXT) | instid1(VALU_DEP_1)
	v_add3_u32 v16, v15, v16, 0x7fff
	v_and_b32_e32 v16, 0xffff0000, v16
	s_delay_alu instid0(VALU_DEP_1) | instskip(NEXT) | instid1(VALU_DEP_1)
	v_cndmask_b32_e64 v15, |v16|, 0x7fc00000, vcc_lo
	v_cmpx_ngt_f32_e32 0x3f200000, v15
	s_xor_b32 s8, exec_lo, s8
	s_cbranch_execz .LBB64_13
; %bb.12:                               ;   in Loop: Header=BB64_3 Depth=1
	v_add_f32_e32 v15, v15, v15
	s_delay_alu instid0(VALU_DEP_1) | instskip(SKIP_1) | instid1(VALU_DEP_2)
	v_mul_f32_e32 v17, 0x3fb8aa3b, v15
	v_cmp_ngt_f32_e64 s0, 0xc2ce8ed0, v15
	v_rndne_f32_e32 v18, v17
	v_fma_f32 v19, 0x3fb8aa3b, v15, -v17
	s_delay_alu instid0(VALU_DEP_2) | instskip(NEXT) | instid1(VALU_DEP_2)
	v_sub_f32_e32 v17, v17, v18
	v_fmac_f32_e32 v19, 0x32a5705f, v15
	v_cvt_i32_f32_e32 v18, v18
	s_delay_alu instid0(VALU_DEP_2) | instskip(NEXT) | instid1(VALU_DEP_1)
	v_add_f32_e32 v17, v17, v19
	v_exp_f32_e32 v17, v17
	s_waitcnt_depctr 0xfff
	v_ldexp_f32 v17, v17, v18
	s_delay_alu instid0(VALU_DEP_1) | instskip(SKIP_1) | instid1(VALU_DEP_1)
	v_cndmask_b32_e64 v17, 0, v17, s0
	v_cmp_nlt_f32_e64 s0, 0x42b17218, v15
	v_cndmask_b32_e64 v15, 0x7f800000, v17, s0
	s_delay_alu instid0(VALU_DEP_1) | instskip(NEXT) | instid1(VALU_DEP_1)
	v_add_f32_e32 v15, 1.0, v15
	v_rcp_f32_e32 v15, v15
	s_waitcnt_depctr 0xfff
	v_fma_f32 v15, v15, -2.0, 1.0
.LBB64_13:                              ;   in Loop: Header=BB64_3 Depth=1
	s_or_saveexec_b32 s0, s8
	v_cndmask_b32_e64 v16, v16, 0x7fc00000, vcc_lo
	s_xor_b32 exec_lo, exec_lo, s0
; %bb.14:                               ;   in Loop: Header=BB64_3 Depth=1
	s_delay_alu instid0(VALU_DEP_1) | instskip(NEXT) | instid1(VALU_DEP_1)
	v_mul_f32_e32 v17, v16, v16
	v_fmaak_f32 v18, s7, v17, 0x3ca908c9
	s_delay_alu instid0(VALU_DEP_1) | instskip(NEXT) | instid1(VALU_DEP_1)
	v_fmaak_f32 v18, v17, v18, 0xbd5c1c4e
	v_fmaak_f32 v18, v17, v18, 0x3e088382
	s_delay_alu instid0(VALU_DEP_1) | instskip(NEXT) | instid1(VALU_DEP_1)
	v_fmaak_f32 v18, v17, v18, 0xbeaaaa99
	v_mul_f32_e32 v18, v15, v18
	s_delay_alu instid0(VALU_DEP_1)
	v_fmac_f32_e32 v15, v17, v18
; %bb.15:                               ;   in Loop: Header=BB64_3 Depth=1
	s_or_b32 exec_lo, exec_lo, s0
	v_and_b32_e32 v2, 0xffff0000, v2
	s_mov_b32 s8, exec_lo
	s_delay_alu instid0(VALU_DEP_1) | instskip(NEXT) | instid1(VALU_DEP_1)
	v_mul_f32_e32 v17, v2, v2
	v_bfe_u32 v18, v17, 16, 1
	v_cmp_o_f32_e32 vcc_lo, v17, v17
	s_delay_alu instid0(VALU_DEP_2) | instskip(NEXT) | instid1(VALU_DEP_1)
	v_add3_u32 v18, v17, v18, 0x7fff
	v_and_b32_e32 v18, 0xffff0000, v18
	s_delay_alu instid0(VALU_DEP_1) | instskip(NEXT) | instid1(VALU_DEP_1)
	v_cndmask_b32_e32 v17, 0x7fc00000, v18, vcc_lo
	v_mul_f32_e32 v17, v17, v2
	s_delay_alu instid0(VALU_DEP_1) | instskip(SKIP_1) | instid1(VALU_DEP_2)
	v_bfe_u32 v18, v17, 16, 1
	v_cmp_o_f32_e32 vcc_lo, v17, v17
	v_add3_u32 v18, v17, v18, 0x7fff
	s_delay_alu instid0(VALU_DEP_1) | instskip(NEXT) | instid1(VALU_DEP_1)
	v_and_b32_e32 v18, 0xffff0000, v18
	v_mul_f32_e32 v18, 0x3d372713, v18
	s_delay_alu instid0(VALU_DEP_1) | instskip(NEXT) | instid1(VALU_DEP_1)
	v_cndmask_b32_e32 v17, 0x7fc00000, v18, vcc_lo
	v_bfe_u32 v18, v17, 16, 1
	v_cmp_o_f32_e32 vcc_lo, v17, v17
	s_delay_alu instid0(VALU_DEP_2) | instskip(NEXT) | instid1(VALU_DEP_1)
	v_add3_u32 v18, v17, v18, 0x7fff
	v_and_b32_e32 v18, 0xffff0000, v18
	s_delay_alu instid0(VALU_DEP_1) | instskip(NEXT) | instid1(VALU_DEP_1)
	v_cndmask_b32_e32 v17, 0x7fc00000, v18, vcc_lo
	v_add_f32_e32 v17, v17, v2
	s_delay_alu instid0(VALU_DEP_1) | instskip(SKIP_1) | instid1(VALU_DEP_2)
	v_bfe_u32 v18, v17, 16, 1
	v_cmp_o_f32_e32 vcc_lo, v17, v17
	v_add3_u32 v18, v17, v18, 0x7fff
	s_delay_alu instid0(VALU_DEP_1) | instskip(NEXT) | instid1(VALU_DEP_1)
	v_and_b32_e32 v18, 0xffff0000, v18
	v_mul_f32_e32 v18, 0x3f4c422a, v18
	s_delay_alu instid0(VALU_DEP_1) | instskip(NEXT) | instid1(VALU_DEP_1)
	v_cndmask_b32_e32 v17, 0x7fc00000, v18, vcc_lo
	v_bfe_u32 v18, v17, 16, 1
	v_cmp_u_f32_e32 vcc_lo, v17, v17
	s_delay_alu instid0(VALU_DEP_2) | instskip(NEXT) | instid1(VALU_DEP_1)
	v_add3_u32 v18, v17, v18, 0x7fff
	v_and_b32_e32 v18, 0xffff0000, v18
	s_delay_alu instid0(VALU_DEP_1) | instskip(NEXT) | instid1(VALU_DEP_1)
	v_cndmask_b32_e64 v17, |v18|, 0x7fc00000, vcc_lo
	v_cmpx_ngt_f32_e32 0x3f200000, v17
	s_xor_b32 s8, exec_lo, s8
	s_cbranch_execz .LBB64_17
; %bb.16:                               ;   in Loop: Header=BB64_3 Depth=1
	v_add_f32_e32 v17, v17, v17
	s_delay_alu instid0(VALU_DEP_1) | instskip(SKIP_1) | instid1(VALU_DEP_2)
	v_mul_f32_e32 v19, 0x3fb8aa3b, v17
	v_cmp_ngt_f32_e64 s0, 0xc2ce8ed0, v17
	v_rndne_f32_e32 v20, v19
	v_fma_f32 v21, 0x3fb8aa3b, v17, -v19
	s_delay_alu instid0(VALU_DEP_2) | instskip(NEXT) | instid1(VALU_DEP_2)
	v_sub_f32_e32 v19, v19, v20
	v_fmac_f32_e32 v21, 0x32a5705f, v17
	v_cvt_i32_f32_e32 v20, v20
	s_delay_alu instid0(VALU_DEP_2) | instskip(NEXT) | instid1(VALU_DEP_1)
	v_add_f32_e32 v19, v19, v21
	v_exp_f32_e32 v19, v19
	s_waitcnt_depctr 0xfff
	v_ldexp_f32 v19, v19, v20
	s_delay_alu instid0(VALU_DEP_1) | instskip(SKIP_1) | instid1(VALU_DEP_1)
	v_cndmask_b32_e64 v19, 0, v19, s0
	v_cmp_nlt_f32_e64 s0, 0x42b17218, v17
	v_cndmask_b32_e64 v17, 0x7f800000, v19, s0
	s_delay_alu instid0(VALU_DEP_1) | instskip(NEXT) | instid1(VALU_DEP_1)
	v_add_f32_e32 v17, 1.0, v17
	v_rcp_f32_e32 v17, v17
	s_waitcnt_depctr 0xfff
	v_fma_f32 v17, v17, -2.0, 1.0
.LBB64_17:                              ;   in Loop: Header=BB64_3 Depth=1
	s_or_saveexec_b32 s0, s8
	v_cndmask_b32_e64 v18, v18, 0x7fc00000, vcc_lo
	s_xor_b32 exec_lo, exec_lo, s0
; %bb.18:                               ;   in Loop: Header=BB64_3 Depth=1
	s_delay_alu instid0(VALU_DEP_1) | instskip(NEXT) | instid1(VALU_DEP_1)
	v_mul_f32_e32 v19, v18, v18
	v_fmaak_f32 v20, s7, v19, 0x3ca908c9
	s_delay_alu instid0(VALU_DEP_1) | instskip(NEXT) | instid1(VALU_DEP_1)
	v_fmaak_f32 v20, v19, v20, 0xbd5c1c4e
	v_fmaak_f32 v20, v19, v20, 0x3e088382
	s_delay_alu instid0(VALU_DEP_1) | instskip(NEXT) | instid1(VALU_DEP_1)
	v_fmaak_f32 v20, v19, v20, 0xbeaaaa99
	v_mul_f32_e32 v20, v17, v20
	s_delay_alu instid0(VALU_DEP_1)
	v_fmac_f32_e32 v17, v19, v20
; %bb.19:                               ;   in Loop: Header=BB64_3 Depth=1
	s_or_b32 exec_lo, exec_lo, s0
	v_lshlrev_b32_e32 v19, 16, v3
	s_mov_b32 s8, exec_lo
	s_delay_alu instid0(VALU_DEP_1) | instskip(NEXT) | instid1(VALU_DEP_1)
	v_mul_f32_e32 v20, v19, v19
	v_bfe_u32 v21, v20, 16, 1
	s_delay_alu instid0(VALU_DEP_1) | instskip(NEXT) | instid1(VALU_DEP_1)
	v_add3_u32 v21, v20, v21, 0x7fff
	v_and_b32_e32 v21, 0xffff0000, v21
	v_cmp_o_f32_e32 vcc_lo, v20, v20
	s_delay_alu instid0(VALU_DEP_2) | instskip(NEXT) | instid1(VALU_DEP_1)
	v_cndmask_b32_e32 v20, 0x7fc00000, v21, vcc_lo
	v_mul_f32_e32 v20, v20, v19
	s_delay_alu instid0(VALU_DEP_1) | instskip(NEXT) | instid1(VALU_DEP_1)
	v_bfe_u32 v21, v20, 16, 1
	v_add3_u32 v21, v20, v21, 0x7fff
	s_delay_alu instid0(VALU_DEP_1) | instskip(SKIP_1) | instid1(VALU_DEP_2)
	v_and_b32_e32 v21, 0xffff0000, v21
	v_cmp_o_f32_e32 vcc_lo, v20, v20
	v_mul_f32_e32 v21, 0x3d372713, v21
	s_delay_alu instid0(VALU_DEP_1) | instskip(NEXT) | instid1(VALU_DEP_1)
	v_cndmask_b32_e32 v20, 0x7fc00000, v21, vcc_lo
	v_bfe_u32 v21, v20, 16, 1
	v_cmp_o_f32_e32 vcc_lo, v20, v20
	s_delay_alu instid0(VALU_DEP_2) | instskip(NEXT) | instid1(VALU_DEP_1)
	v_add3_u32 v21, v20, v21, 0x7fff
	v_and_b32_e32 v21, 0xffff0000, v21
	s_delay_alu instid0(VALU_DEP_1) | instskip(NEXT) | instid1(VALU_DEP_1)
	v_cndmask_b32_e32 v20, 0x7fc00000, v21, vcc_lo
	v_add_f32_e32 v20, v20, v19
	s_delay_alu instid0(VALU_DEP_1) | instskip(SKIP_1) | instid1(VALU_DEP_2)
	v_bfe_u32 v21, v20, 16, 1
	v_cmp_o_f32_e32 vcc_lo, v20, v20
	v_add3_u32 v21, v20, v21, 0x7fff
	s_delay_alu instid0(VALU_DEP_1) | instskip(NEXT) | instid1(VALU_DEP_1)
	v_and_b32_e32 v21, 0xffff0000, v21
	v_mul_f32_e32 v21, 0x3f4c422a, v21
	s_delay_alu instid0(VALU_DEP_1) | instskip(NEXT) | instid1(VALU_DEP_1)
	v_cndmask_b32_e32 v20, 0x7fc00000, v21, vcc_lo
	v_bfe_u32 v21, v20, 16, 1
	v_cmp_u_f32_e32 vcc_lo, v20, v20
	s_delay_alu instid0(VALU_DEP_2) | instskip(NEXT) | instid1(VALU_DEP_1)
	v_add3_u32 v21, v20, v21, 0x7fff
	v_and_b32_e32 v21, 0xffff0000, v21
	s_delay_alu instid0(VALU_DEP_1) | instskip(NEXT) | instid1(VALU_DEP_1)
	v_cndmask_b32_e64 v20, |v21|, 0x7fc00000, vcc_lo
	v_cmpx_ngt_f32_e32 0x3f200000, v20
	s_xor_b32 s8, exec_lo, s8
	s_cbranch_execz .LBB64_21
; %bb.20:                               ;   in Loop: Header=BB64_3 Depth=1
	v_add_f32_e32 v20, v20, v20
	s_delay_alu instid0(VALU_DEP_1) | instskip(SKIP_1) | instid1(VALU_DEP_2)
	v_mul_f32_e32 v22, 0x3fb8aa3b, v20
	v_cmp_ngt_f32_e64 s0, 0xc2ce8ed0, v20
	v_rndne_f32_e32 v23, v22
	v_fma_f32 v24, 0x3fb8aa3b, v20, -v22
	s_delay_alu instid0(VALU_DEP_2) | instskip(NEXT) | instid1(VALU_DEP_2)
	v_sub_f32_e32 v22, v22, v23
	v_fmac_f32_e32 v24, 0x32a5705f, v20
	v_cvt_i32_f32_e32 v23, v23
	s_delay_alu instid0(VALU_DEP_2) | instskip(NEXT) | instid1(VALU_DEP_1)
	v_add_f32_e32 v22, v22, v24
	v_exp_f32_e32 v22, v22
	s_waitcnt_depctr 0xfff
	v_ldexp_f32 v22, v22, v23
	s_delay_alu instid0(VALU_DEP_1) | instskip(SKIP_1) | instid1(VALU_DEP_1)
	v_cndmask_b32_e64 v22, 0, v22, s0
	v_cmp_nlt_f32_e64 s0, 0x42b17218, v20
	v_cndmask_b32_e64 v20, 0x7f800000, v22, s0
	s_delay_alu instid0(VALU_DEP_1) | instskip(NEXT) | instid1(VALU_DEP_1)
	v_add_f32_e32 v20, 1.0, v20
	v_rcp_f32_e32 v20, v20
	s_waitcnt_depctr 0xfff
	v_fma_f32 v20, v20, -2.0, 1.0
.LBB64_21:                              ;   in Loop: Header=BB64_3 Depth=1
	s_or_saveexec_b32 s0, s8
	v_cndmask_b32_e64 v21, v21, 0x7fc00000, vcc_lo
	s_xor_b32 exec_lo, exec_lo, s0
; %bb.22:                               ;   in Loop: Header=BB64_3 Depth=1
	s_delay_alu instid0(VALU_DEP_1) | instskip(NEXT) | instid1(VALU_DEP_1)
	v_mul_f32_e32 v22, v21, v21
	v_fmaak_f32 v23, s7, v22, 0x3ca908c9
	s_delay_alu instid0(VALU_DEP_1) | instskip(NEXT) | instid1(VALU_DEP_1)
	v_fmaak_f32 v23, v22, v23, 0xbd5c1c4e
	v_fmaak_f32 v23, v22, v23, 0x3e088382
	s_delay_alu instid0(VALU_DEP_1) | instskip(NEXT) | instid1(VALU_DEP_1)
	v_fmaak_f32 v23, v22, v23, 0xbeaaaa99
	v_mul_f32_e32 v23, v20, v23
	s_delay_alu instid0(VALU_DEP_1)
	v_fmac_f32_e32 v20, v22, v23
; %bb.23:                               ;   in Loop: Header=BB64_3 Depth=1
	s_or_b32 exec_lo, exec_lo, s0
	v_and_b32_e32 v22, 0xffff0000, v3
	s_mov_b32 s8, exec_lo
	s_delay_alu instid0(VALU_DEP_1) | instskip(NEXT) | instid1(VALU_DEP_1)
	v_mul_f32_e32 v3, v22, v22
	v_bfe_u32 v23, v3, 16, 1
	v_cmp_o_f32_e32 vcc_lo, v3, v3
	s_delay_alu instid0(VALU_DEP_2) | instskip(NEXT) | instid1(VALU_DEP_1)
	v_add3_u32 v23, v3, v23, 0x7fff
	v_and_b32_e32 v23, 0xffff0000, v23
	s_delay_alu instid0(VALU_DEP_1) | instskip(NEXT) | instid1(VALU_DEP_1)
	v_cndmask_b32_e32 v3, 0x7fc00000, v23, vcc_lo
	v_mul_f32_e32 v3, v3, v22
	s_delay_alu instid0(VALU_DEP_1) | instskip(SKIP_1) | instid1(VALU_DEP_2)
	v_bfe_u32 v23, v3, 16, 1
	v_cmp_o_f32_e32 vcc_lo, v3, v3
	v_add3_u32 v23, v3, v23, 0x7fff
	s_delay_alu instid0(VALU_DEP_1) | instskip(NEXT) | instid1(VALU_DEP_1)
	v_and_b32_e32 v23, 0xffff0000, v23
	v_mul_f32_e32 v23, 0x3d372713, v23
	s_delay_alu instid0(VALU_DEP_1) | instskip(NEXT) | instid1(VALU_DEP_1)
	v_cndmask_b32_e32 v3, 0x7fc00000, v23, vcc_lo
	v_bfe_u32 v23, v3, 16, 1
	v_cmp_o_f32_e32 vcc_lo, v3, v3
	s_delay_alu instid0(VALU_DEP_2) | instskip(NEXT) | instid1(VALU_DEP_1)
	v_add3_u32 v23, v3, v23, 0x7fff
	v_and_b32_e32 v23, 0xffff0000, v23
	s_delay_alu instid0(VALU_DEP_1) | instskip(NEXT) | instid1(VALU_DEP_1)
	v_cndmask_b32_e32 v3, 0x7fc00000, v23, vcc_lo
	v_add_f32_e32 v3, v3, v22
	s_delay_alu instid0(VALU_DEP_1) | instskip(SKIP_1) | instid1(VALU_DEP_2)
	v_bfe_u32 v23, v3, 16, 1
	v_cmp_o_f32_e32 vcc_lo, v3, v3
	v_add3_u32 v23, v3, v23, 0x7fff
	s_delay_alu instid0(VALU_DEP_1) | instskip(NEXT) | instid1(VALU_DEP_1)
	v_and_b32_e32 v23, 0xffff0000, v23
	v_mul_f32_e32 v23, 0x3f4c422a, v23
	s_delay_alu instid0(VALU_DEP_1) | instskip(NEXT) | instid1(VALU_DEP_1)
	v_cndmask_b32_e32 v23, 0x7fc00000, v23, vcc_lo
	v_bfe_u32 v3, v23, 16, 1
	v_cmp_u_f32_e32 vcc_lo, v23, v23
	s_delay_alu instid0(VALU_DEP_2) | instskip(NEXT) | instid1(VALU_DEP_1)
	v_add3_u32 v3, v23, v3, 0x7fff
	v_and_b32_e32 v3, 0xffff0000, v3
	s_delay_alu instid0(VALU_DEP_1) | instskip(NEXT) | instid1(VALU_DEP_1)
	v_cndmask_b32_e64 v24, |v3|, 0x7fc00000, vcc_lo
	v_cmpx_ngt_f32_e32 0x3f200000, v24
	s_xor_b32 s8, exec_lo, s8
	s_cbranch_execz .LBB64_25
; %bb.24:                               ;   in Loop: Header=BB64_3 Depth=1
	v_add_f32_e32 v23, v24, v24
	s_delay_alu instid0(VALU_DEP_1) | instskip(SKIP_1) | instid1(VALU_DEP_2)
	v_mul_f32_e32 v24, 0x3fb8aa3b, v23
	v_cmp_ngt_f32_e64 s0, 0xc2ce8ed0, v23
	v_rndne_f32_e32 v25, v24
	v_fma_f32 v26, 0x3fb8aa3b, v23, -v24
	s_delay_alu instid0(VALU_DEP_2) | instskip(NEXT) | instid1(VALU_DEP_2)
	v_sub_f32_e32 v24, v24, v25
	v_fmac_f32_e32 v26, 0x32a5705f, v23
	v_cvt_i32_f32_e32 v25, v25
	s_delay_alu instid0(VALU_DEP_2) | instskip(NEXT) | instid1(VALU_DEP_1)
	v_add_f32_e32 v24, v24, v26
	v_exp_f32_e32 v24, v24
	s_waitcnt_depctr 0xfff
	v_ldexp_f32 v24, v24, v25
	s_delay_alu instid0(VALU_DEP_1) | instskip(SKIP_1) | instid1(VALU_DEP_1)
	v_cndmask_b32_e64 v24, 0, v24, s0
	v_cmp_nlt_f32_e64 s0, 0x42b17218, v23
	v_cndmask_b32_e64 v23, 0x7f800000, v24, s0
	s_delay_alu instid0(VALU_DEP_1) | instskip(NEXT) | instid1(VALU_DEP_1)
	v_add_f32_e32 v23, 1.0, v23
	v_rcp_f32_e32 v23, v23
	s_waitcnt_depctr 0xfff
	v_fma_f32 v24, v23, -2.0, 1.0
.LBB64_25:                              ;   in Loop: Header=BB64_3 Depth=1
	s_or_saveexec_b32 s0, s8
	v_cndmask_b32_e64 v25, v3, 0x7fc00000, vcc_lo
	s_xor_b32 exec_lo, exec_lo, s0
; %bb.26:                               ;   in Loop: Header=BB64_3 Depth=1
	s_delay_alu instid0(VALU_DEP_1) | instskip(NEXT) | instid1(VALU_DEP_1)
	v_mul_f32_e32 v3, v25, v25
	v_fmaak_f32 v23, s7, v3, 0x3ca908c9
	s_delay_alu instid0(VALU_DEP_1) | instskip(NEXT) | instid1(VALU_DEP_1)
	v_fmaak_f32 v23, v3, v23, 0xbd5c1c4e
	v_fmaak_f32 v23, v3, v23, 0x3e088382
	s_delay_alu instid0(VALU_DEP_1) | instskip(NEXT) | instid1(VALU_DEP_1)
	v_fmaak_f32 v23, v3, v23, 0xbeaaaa99
	v_mul_f32_e32 v23, v24, v23
	s_delay_alu instid0(VALU_DEP_1)
	v_fmac_f32_e32 v24, v3, v23
; %bb.27:                               ;   in Loop: Header=BB64_3 Depth=1
	s_or_b32 exec_lo, exec_lo, s0
	v_lshlrev_b32_e32 v26, 16, v4
	s_mov_b32 s8, exec_lo
	s_delay_alu instid0(VALU_DEP_1) | instskip(NEXT) | instid1(VALU_DEP_1)
	v_mul_f32_e32 v3, v26, v26
	v_bfe_u32 v23, v3, 16, 1
	v_cmp_o_f32_e32 vcc_lo, v3, v3
	s_delay_alu instid0(VALU_DEP_2) | instskip(NEXT) | instid1(VALU_DEP_1)
	v_add3_u32 v23, v3, v23, 0x7fff
	v_and_b32_e32 v23, 0xffff0000, v23
	s_delay_alu instid0(VALU_DEP_1) | instskip(NEXT) | instid1(VALU_DEP_1)
	v_cndmask_b32_e32 v3, 0x7fc00000, v23, vcc_lo
	v_mul_f32_e32 v3, v3, v26
	s_delay_alu instid0(VALU_DEP_1) | instskip(SKIP_1) | instid1(VALU_DEP_2)
	v_bfe_u32 v23, v3, 16, 1
	v_cmp_o_f32_e32 vcc_lo, v3, v3
	v_add3_u32 v23, v3, v23, 0x7fff
	s_delay_alu instid0(VALU_DEP_1) | instskip(NEXT) | instid1(VALU_DEP_1)
	v_and_b32_e32 v23, 0xffff0000, v23
	v_mul_f32_e32 v23, 0x3d372713, v23
	s_delay_alu instid0(VALU_DEP_1) | instskip(NEXT) | instid1(VALU_DEP_1)
	v_cndmask_b32_e32 v3, 0x7fc00000, v23, vcc_lo
	v_bfe_u32 v23, v3, 16, 1
	v_cmp_o_f32_e32 vcc_lo, v3, v3
	s_delay_alu instid0(VALU_DEP_2) | instskip(NEXT) | instid1(VALU_DEP_1)
	v_add3_u32 v23, v3, v23, 0x7fff
	v_and_b32_e32 v23, 0xffff0000, v23
	s_delay_alu instid0(VALU_DEP_1) | instskip(NEXT) | instid1(VALU_DEP_1)
	v_cndmask_b32_e32 v3, 0x7fc00000, v23, vcc_lo
	v_add_f32_e32 v3, v3, v26
	s_delay_alu instid0(VALU_DEP_1) | instskip(SKIP_1) | instid1(VALU_DEP_2)
	v_bfe_u32 v23, v3, 16, 1
	v_cmp_o_f32_e32 vcc_lo, v3, v3
	v_add3_u32 v23, v3, v23, 0x7fff
	s_delay_alu instid0(VALU_DEP_1) | instskip(NEXT) | instid1(VALU_DEP_1)
	v_and_b32_e32 v23, 0xffff0000, v23
	v_mul_f32_e32 v23, 0x3f4c422a, v23
	s_delay_alu instid0(VALU_DEP_1) | instskip(NEXT) | instid1(VALU_DEP_1)
	v_cndmask_b32_e32 v23, 0x7fc00000, v23, vcc_lo
	v_bfe_u32 v3, v23, 16, 1
	v_cmp_u_f32_e32 vcc_lo, v23, v23
	s_delay_alu instid0(VALU_DEP_2) | instskip(NEXT) | instid1(VALU_DEP_1)
	v_add3_u32 v3, v23, v3, 0x7fff
	v_and_b32_e32 v3, 0xffff0000, v3
	s_delay_alu instid0(VALU_DEP_1) | instskip(NEXT) | instid1(VALU_DEP_1)
	v_cndmask_b32_e64 v27, |v3|, 0x7fc00000, vcc_lo
	v_cmpx_ngt_f32_e32 0x3f200000, v27
	s_xor_b32 s8, exec_lo, s8
	s_cbranch_execz .LBB64_29
; %bb.28:                               ;   in Loop: Header=BB64_3 Depth=1
	v_add_f32_e32 v23, v27, v27
	s_delay_alu instid0(VALU_DEP_1) | instskip(SKIP_1) | instid1(VALU_DEP_2)
	v_mul_f32_e32 v27, 0x3fb8aa3b, v23
	v_cmp_ngt_f32_e64 s0, 0xc2ce8ed0, v23
	v_rndne_f32_e32 v28, v27
	v_fma_f32 v29, 0x3fb8aa3b, v23, -v27
	s_delay_alu instid0(VALU_DEP_2) | instskip(NEXT) | instid1(VALU_DEP_2)
	v_sub_f32_e32 v27, v27, v28
	v_fmac_f32_e32 v29, 0x32a5705f, v23
	v_cvt_i32_f32_e32 v28, v28
	s_delay_alu instid0(VALU_DEP_2) | instskip(NEXT) | instid1(VALU_DEP_1)
	v_add_f32_e32 v27, v27, v29
	v_exp_f32_e32 v27, v27
	s_waitcnt_depctr 0xfff
	v_ldexp_f32 v27, v27, v28
	s_delay_alu instid0(VALU_DEP_1) | instskip(SKIP_1) | instid1(VALU_DEP_1)
	v_cndmask_b32_e64 v27, 0, v27, s0
	v_cmp_nlt_f32_e64 s0, 0x42b17218, v23
	v_cndmask_b32_e64 v23, 0x7f800000, v27, s0
	s_delay_alu instid0(VALU_DEP_1) | instskip(NEXT) | instid1(VALU_DEP_1)
	v_add_f32_e32 v23, 1.0, v23
	v_rcp_f32_e32 v23, v23
	s_waitcnt_depctr 0xfff
	v_fma_f32 v27, v23, -2.0, 1.0
.LBB64_29:                              ;   in Loop: Header=BB64_3 Depth=1
	s_or_saveexec_b32 s0, s8
	v_cndmask_b32_e64 v28, v3, 0x7fc00000, vcc_lo
	s_xor_b32 exec_lo, exec_lo, s0
; %bb.30:                               ;   in Loop: Header=BB64_3 Depth=1
	s_delay_alu instid0(VALU_DEP_1) | instskip(NEXT) | instid1(VALU_DEP_1)
	v_mul_f32_e32 v3, v28, v28
	v_fmaak_f32 v23, s7, v3, 0x3ca908c9
	s_delay_alu instid0(VALU_DEP_1) | instskip(NEXT) | instid1(VALU_DEP_1)
	v_fmaak_f32 v23, v3, v23, 0xbd5c1c4e
	v_fmaak_f32 v23, v3, v23, 0x3e088382
	s_delay_alu instid0(VALU_DEP_1) | instskip(NEXT) | instid1(VALU_DEP_1)
	v_fmaak_f32 v23, v3, v23, 0xbeaaaa99
	v_mul_f32_e32 v23, v27, v23
	s_delay_alu instid0(VALU_DEP_1)
	v_fmac_f32_e32 v27, v3, v23
; %bb.31:                               ;   in Loop: Header=BB64_3 Depth=1
	s_or_b32 exec_lo, exec_lo, s0
	v_and_b32_e32 v3, 0xffff0000, v4
	s_mov_b32 s8, exec_lo
	s_delay_alu instid0(VALU_DEP_1) | instskip(NEXT) | instid1(VALU_DEP_1)
	v_mul_f32_e32 v4, v3, v3
	v_bfe_u32 v23, v4, 16, 1
	v_cmp_o_f32_e32 vcc_lo, v4, v4
	s_delay_alu instid0(VALU_DEP_2) | instskip(NEXT) | instid1(VALU_DEP_1)
	v_add3_u32 v23, v4, v23, 0x7fff
	v_and_b32_e32 v23, 0xffff0000, v23
	s_delay_alu instid0(VALU_DEP_1) | instskip(NEXT) | instid1(VALU_DEP_1)
	v_cndmask_b32_e32 v4, 0x7fc00000, v23, vcc_lo
	v_mul_f32_e32 v4, v4, v3
	s_delay_alu instid0(VALU_DEP_1) | instskip(SKIP_1) | instid1(VALU_DEP_2)
	v_bfe_u32 v23, v4, 16, 1
	v_cmp_o_f32_e32 vcc_lo, v4, v4
	v_add3_u32 v23, v4, v23, 0x7fff
	s_delay_alu instid0(VALU_DEP_1) | instskip(NEXT) | instid1(VALU_DEP_1)
	v_and_b32_e32 v23, 0xffff0000, v23
	v_mul_f32_e32 v23, 0x3d372713, v23
	s_delay_alu instid0(VALU_DEP_1) | instskip(NEXT) | instid1(VALU_DEP_1)
	v_cndmask_b32_e32 v4, 0x7fc00000, v23, vcc_lo
	v_bfe_u32 v23, v4, 16, 1
	v_cmp_o_f32_e32 vcc_lo, v4, v4
	s_delay_alu instid0(VALU_DEP_2) | instskip(NEXT) | instid1(VALU_DEP_1)
	v_add3_u32 v23, v4, v23, 0x7fff
	v_and_b32_e32 v23, 0xffff0000, v23
	s_delay_alu instid0(VALU_DEP_1) | instskip(NEXT) | instid1(VALU_DEP_1)
	v_cndmask_b32_e32 v4, 0x7fc00000, v23, vcc_lo
	v_add_f32_e32 v4, v4, v3
	s_delay_alu instid0(VALU_DEP_1) | instskip(SKIP_1) | instid1(VALU_DEP_2)
	v_bfe_u32 v23, v4, 16, 1
	v_cmp_o_f32_e32 vcc_lo, v4, v4
	v_add3_u32 v23, v4, v23, 0x7fff
	s_delay_alu instid0(VALU_DEP_1) | instskip(NEXT) | instid1(VALU_DEP_1)
	v_and_b32_e32 v23, 0xffff0000, v23
	v_mul_f32_e32 v23, 0x3f4c422a, v23
	s_delay_alu instid0(VALU_DEP_1) | instskip(NEXT) | instid1(VALU_DEP_1)
	v_cndmask_b32_e32 v4, 0x7fc00000, v23, vcc_lo
	v_bfe_u32 v23, v4, 16, 1
	v_cmp_u_f32_e32 vcc_lo, v4, v4
	s_delay_alu instid0(VALU_DEP_2) | instskip(NEXT) | instid1(VALU_DEP_1)
	v_add3_u32 v23, v4, v23, 0x7fff
	v_and_b32_e32 v23, 0xffff0000, v23
	s_delay_alu instid0(VALU_DEP_1) | instskip(NEXT) | instid1(VALU_DEP_1)
	v_cndmask_b32_e64 v4, |v23|, 0x7fc00000, vcc_lo
	v_cmpx_ngt_f32_e32 0x3f200000, v4
	s_xor_b32 s8, exec_lo, s8
	s_cbranch_execz .LBB64_33
; %bb.32:                               ;   in Loop: Header=BB64_3 Depth=1
	v_add_f32_e32 v4, v4, v4
	s_delay_alu instid0(VALU_DEP_1) | instskip(NEXT) | instid1(VALU_DEP_1)
	v_mul_f32_e32 v29, 0x3fb8aa3b, v4
	v_rndne_f32_e32 v30, v29
	v_fma_f32 v31, 0x3fb8aa3b, v4, -v29
	s_delay_alu instid0(VALU_DEP_2) | instskip(NEXT) | instid1(VALU_DEP_2)
	v_sub_f32_e32 v29, v29, v30
	v_fmac_f32_e32 v31, 0x32a5705f, v4
	v_cvt_i32_f32_e32 v30, v30
	v_cmp_ngt_f32_e64 s0, 0xc2ce8ed0, v4
	s_delay_alu instid0(VALU_DEP_3) | instskip(NEXT) | instid1(VALU_DEP_1)
	v_add_f32_e32 v29, v29, v31
	v_exp_f32_e32 v29, v29
	s_waitcnt_depctr 0xfff
	v_ldexp_f32 v29, v29, v30
	s_delay_alu instid0(VALU_DEP_1) | instskip(SKIP_1) | instid1(VALU_DEP_1)
	v_cndmask_b32_e64 v29, 0, v29, s0
	v_cmp_nlt_f32_e64 s0, 0x42b17218, v4
	v_cndmask_b32_e64 v4, 0x7f800000, v29, s0
	s_delay_alu instid0(VALU_DEP_1) | instskip(NEXT) | instid1(VALU_DEP_1)
	v_add_f32_e32 v4, 1.0, v4
	v_rcp_f32_e32 v4, v4
	s_waitcnt_depctr 0xfff
	v_fma_f32 v4, v4, -2.0, 1.0
.LBB64_33:                              ;   in Loop: Header=BB64_3 Depth=1
	s_or_saveexec_b32 s0, s8
	v_cndmask_b32_e64 v23, v23, 0x7fc00000, vcc_lo
	s_xor_b32 exec_lo, exec_lo, s0
	s_cbranch_execz .LBB64_2
; %bb.34:                               ;   in Loop: Header=BB64_3 Depth=1
	s_delay_alu instid0(VALU_DEP_1) | instskip(NEXT) | instid1(VALU_DEP_1)
	v_mul_f32_e32 v29, v23, v23
	v_fmaak_f32 v30, s7, v29, 0x3ca908c9
	s_delay_alu instid0(VALU_DEP_1) | instskip(NEXT) | instid1(VALU_DEP_1)
	v_fmaak_f32 v30, v29, v30, 0xbd5c1c4e
	v_fmaak_f32 v30, v29, v30, 0x3e088382
	s_delay_alu instid0(VALU_DEP_1) | instskip(NEXT) | instid1(VALU_DEP_1)
	v_fmaak_f32 v30, v29, v30, 0xbeaaaa99
	v_mul_f32_e32 v30, v4, v30
	s_delay_alu instid0(VALU_DEP_1)
	v_fmac_f32_e32 v4, v29, v30
	s_branch .LBB64_2
.LBB64_35:
	s_nop 0
	s_sendmsg sendmsg(MSG_DEALLOC_VGPRS)
	s_endpgm
	.section	.rodata,"a",@progbits
	.p2align	6, 0x0
	.amdhsa_kernel _ZN4vllm17activation_kernelIN3c108BFloat16ETnPFT_RKS3_EXadL_ZNS_15gelu_new_kernelIS2_EES3_S5_EELb1ELb0EEEvPS3_PS4_i
		.amdhsa_group_segment_fixed_size 0
		.amdhsa_private_segment_fixed_size 0
		.amdhsa_kernarg_size 280
		.amdhsa_user_sgpr_count 15
		.amdhsa_user_sgpr_dispatch_ptr 0
		.amdhsa_user_sgpr_queue_ptr 0
		.amdhsa_user_sgpr_kernarg_segment_ptr 1
		.amdhsa_user_sgpr_dispatch_id 0
		.amdhsa_user_sgpr_private_segment_size 0
		.amdhsa_wavefront_size32 1
		.amdhsa_uses_dynamic_stack 0
		.amdhsa_enable_private_segment 0
		.amdhsa_system_sgpr_workgroup_id_x 1
		.amdhsa_system_sgpr_workgroup_id_y 0
		.amdhsa_system_sgpr_workgroup_id_z 0
		.amdhsa_system_sgpr_workgroup_info 0
		.amdhsa_system_vgpr_workitem_id 0
		.amdhsa_next_free_vgpr 32
		.amdhsa_next_free_sgpr 16
		.amdhsa_reserve_vcc 1
		.amdhsa_float_round_mode_32 0
		.amdhsa_float_round_mode_16_64 0
		.amdhsa_float_denorm_mode_32 3
		.amdhsa_float_denorm_mode_16_64 3
		.amdhsa_dx10_clamp 1
		.amdhsa_ieee_mode 1
		.amdhsa_fp16_overflow 0
		.amdhsa_workgroup_processor_mode 1
		.amdhsa_memory_ordered 1
		.amdhsa_forward_progress 0
		.amdhsa_shared_vgpr_count 0
		.amdhsa_exception_fp_ieee_invalid_op 0
		.amdhsa_exception_fp_denorm_src 0
		.amdhsa_exception_fp_ieee_div_zero 0
		.amdhsa_exception_fp_ieee_overflow 0
		.amdhsa_exception_fp_ieee_underflow 0
		.amdhsa_exception_fp_ieee_inexact 0
		.amdhsa_exception_int_div_zero 0
	.end_amdhsa_kernel
	.section	.text._ZN4vllm17activation_kernelIN3c108BFloat16ETnPFT_RKS3_EXadL_ZNS_15gelu_new_kernelIS2_EES3_S5_EELb1ELb0EEEvPS3_PS4_i,"axG",@progbits,_ZN4vllm17activation_kernelIN3c108BFloat16ETnPFT_RKS3_EXadL_ZNS_15gelu_new_kernelIS2_EES3_S5_EELb1ELb0EEEvPS3_PS4_i,comdat
.Lfunc_end64:
	.size	_ZN4vllm17activation_kernelIN3c108BFloat16ETnPFT_RKS3_EXadL_ZNS_15gelu_new_kernelIS2_EES3_S5_EELb1ELb0EEEvPS3_PS4_i, .Lfunc_end64-_ZN4vllm17activation_kernelIN3c108BFloat16ETnPFT_RKS3_EXadL_ZNS_15gelu_new_kernelIS2_EES3_S5_EELb1ELb0EEEvPS3_PS4_i
                                        ; -- End function
	.section	.AMDGPU.csdata,"",@progbits
; Kernel info:
; codeLenInByte = 6188
; NumSgprs: 18
; NumVgprs: 32
; ScratchSize: 0
; MemoryBound: 0
; FloatMode: 240
; IeeeMode: 1
; LDSByteSize: 0 bytes/workgroup (compile time only)
; SGPRBlocks: 2
; VGPRBlocks: 3
; NumSGPRsForWavesPerEU: 18
; NumVGPRsForWavesPerEU: 32
; Occupancy: 16
; WaveLimiterHint : 0
; COMPUTE_PGM_RSRC2:SCRATCH_EN: 0
; COMPUTE_PGM_RSRC2:USER_SGPR: 15
; COMPUTE_PGM_RSRC2:TRAP_HANDLER: 0
; COMPUTE_PGM_RSRC2:TGID_X_EN: 1
; COMPUTE_PGM_RSRC2:TGID_Y_EN: 0
; COMPUTE_PGM_RSRC2:TGID_Z_EN: 0
; COMPUTE_PGM_RSRC2:TIDIG_COMP_CNT: 0
	.section	.text._ZN4vllm17activation_kernelIfTnPFT_RKS1_EXadL_ZNS_15gelu_new_kernelIfEES1_S3_EELb0ELb0EEEvPS1_PS2_i,"axG",@progbits,_ZN4vllm17activation_kernelIfTnPFT_RKS1_EXadL_ZNS_15gelu_new_kernelIfEES1_S3_EELb0ELb0EEEvPS1_PS2_i,comdat
	.protected	_ZN4vllm17activation_kernelIfTnPFT_RKS1_EXadL_ZNS_15gelu_new_kernelIfEES1_S3_EELb0ELb0EEEvPS1_PS2_i ; -- Begin function _ZN4vllm17activation_kernelIfTnPFT_RKS1_EXadL_ZNS_15gelu_new_kernelIfEES1_S3_EELb0ELb0EEEvPS1_PS2_i
	.globl	_ZN4vllm17activation_kernelIfTnPFT_RKS1_EXadL_ZNS_15gelu_new_kernelIfEES1_S3_EELb0ELb0EEEvPS1_PS2_i
	.p2align	8
	.type	_ZN4vllm17activation_kernelIfTnPFT_RKS1_EXadL_ZNS_15gelu_new_kernelIfEES1_S3_EELb0ELb0EEEvPS1_PS2_i,@function
_ZN4vllm17activation_kernelIfTnPFT_RKS1_EXadL_ZNS_15gelu_new_kernelIfEES1_S3_EELb0ELb0EEEvPS1_PS2_i: ; @_ZN4vllm17activation_kernelIfTnPFT_RKS1_EXadL_ZNS_15gelu_new_kernelIfEES1_S3_EELb0ELb0EEEvPS1_PS2_i
; %bb.0:
	s_load_b32 s2, s[0:1], 0x10
	s_mov_b32 s3, exec_lo
	s_waitcnt lgkmcnt(0)
	v_cmpx_gt_i32_e64 s2, v0
	s_cbranch_execz .LBB65_7
; %bb.1:
	s_clause 0x1
	s_load_b32 s3, s[0:1], 0x24
	s_load_b128 s[4:7], s[0:1], 0x0
	v_dual_mov_b32 v1, 0 :: v_dual_lshlrev_b32 v2, 2, v0
	s_mul_i32 s0, s15, s2
	s_mov_b32 s1, 0
	s_mov_b32 s10, 0xbbbac73d
	s_lshl_b64 s[8:9], s[0:1], 2
	s_delay_alu instid0(SALU_CYCLE_1) | instskip(NEXT) | instid1(VALU_DEP_1)
	v_add_co_u32 v2, s0, v2, s8
	v_add_co_ci_u32_e64 v3, null, 0, s9, s0
	s_waitcnt lgkmcnt(0)
	s_and_b32 s8, s3, 0xffff
	s_ashr_i32 s3, s2, 31
	s_lshl_b32 s9, s8, 2
	s_branch .LBB65_3
.LBB65_2:                               ;   in Loop: Header=BB65_3 Depth=1
	s_or_b32 exec_lo, exec_lo, s0
	s_waitcnt_depctr 0xfff
	v_bfi_b32 v5, 0x7fffffff, v6, v5
	v_mul_f32_e32 v4, 0.5, v4
	v_add_co_u32 v0, vcc_lo, v0, s8
	v_add_co_ci_u32_e32 v1, vcc_lo, 0, v1, vcc_lo
	s_delay_alu instid0(VALU_DEP_4) | instskip(NEXT) | instid1(VALU_DEP_1)
	v_add_f32_e32 v5, 1.0, v5
	v_mul_f32_e32 v6, v4, v5
	v_add_co_u32 v4, vcc_lo, s4, v2
	v_add_co_ci_u32_e32 v5, vcc_lo, s5, v3, vcc_lo
	v_cmp_le_i64_e32 vcc_lo, s[2:3], v[0:1]
	v_add_co_u32 v2, s0, v2, s9
	s_delay_alu instid0(VALU_DEP_1) | instskip(SKIP_2) | instid1(SALU_CYCLE_1)
	v_add_co_ci_u32_e64 v3, s0, 0, v3, s0
	global_store_b32 v[4:5], v6, off
	s_or_b32 s1, vcc_lo, s1
	s_and_not1_b32 exec_lo, exec_lo, s1
	s_cbranch_execz .LBB65_7
.LBB65_3:                               ; =>This Inner Loop Header: Depth=1
	v_add_co_u32 v4, vcc_lo, s6, v2
	v_add_co_ci_u32_e32 v5, vcc_lo, s7, v3, vcc_lo
                                        ; implicit-def: $vgpr6
	global_load_b32 v4, v[4:5], off
	s_waitcnt vmcnt(0)
	v_mul_f32_e32 v5, v4, v4
	s_delay_alu instid0(VALU_DEP_1) | instskip(NEXT) | instid1(VALU_DEP_1)
	v_mul_f32_e32 v5, v4, v5
	v_fmamk_f32 v5, v5, 0x3d372713, v4
	s_delay_alu instid0(VALU_DEP_1) | instskip(NEXT) | instid1(VALU_DEP_1)
	v_mul_f32_e32 v5, 0x3f4c422a, v5
	v_cmp_ngt_f32_e64 s0, 0x3f200000, |v5|
	s_delay_alu instid0(VALU_DEP_1) | instskip(NEXT) | instid1(SALU_CYCLE_1)
	s_and_saveexec_b32 s11, s0
	s_xor_b32 s0, exec_lo, s11
	s_cbranch_execz .LBB65_5
; %bb.4:                                ;   in Loop: Header=BB65_3 Depth=1
	v_add_f32_e64 v6, |v5|, |v5|
	s_delay_alu instid0(VALU_DEP_1) | instskip(SKIP_1) | instid1(VALU_DEP_2)
	v_mul_f32_e32 v7, 0x3fb8aa3b, v6
	v_cmp_ngt_f32_e32 vcc_lo, 0xc2ce8ed0, v6
	v_rndne_f32_e32 v8, v7
	v_fma_f32 v9, 0x3fb8aa3b, v6, -v7
	s_delay_alu instid0(VALU_DEP_2) | instskip(NEXT) | instid1(VALU_DEP_2)
	v_sub_f32_e32 v7, v7, v8
	v_fmac_f32_e32 v9, 0x32a5705f, v6
	v_cvt_i32_f32_e32 v8, v8
	s_delay_alu instid0(VALU_DEP_2) | instskip(NEXT) | instid1(VALU_DEP_1)
	v_add_f32_e32 v7, v7, v9
	v_exp_f32_e32 v7, v7
	s_waitcnt_depctr 0xfff
	v_ldexp_f32 v7, v7, v8
	s_delay_alu instid0(VALU_DEP_1) | instskip(SKIP_1) | instid1(VALU_DEP_2)
	v_cndmask_b32_e32 v7, 0, v7, vcc_lo
	v_cmp_nlt_f32_e32 vcc_lo, 0x42b17218, v6
	v_cndmask_b32_e32 v6, 0x7f800000, v7, vcc_lo
	s_delay_alu instid0(VALU_DEP_1) | instskip(NEXT) | instid1(VALU_DEP_1)
	v_add_f32_e32 v6, 1.0, v6
	v_rcp_f32_e32 v6, v6
	s_waitcnt_depctr 0xfff
	v_fma_f32 v6, v6, -2.0, 1.0
.LBB65_5:                               ;   in Loop: Header=BB65_3 Depth=1
	s_and_not1_saveexec_b32 s0, s0
	s_cbranch_execz .LBB65_2
; %bb.6:                                ;   in Loop: Header=BB65_3 Depth=1
	v_mul_f32_e32 v6, v5, v5
	s_delay_alu instid0(VALU_DEP_1) | instskip(NEXT) | instid1(VALU_DEP_1)
	v_fmaak_f32 v7, s10, v6, 0x3ca908c9
	v_fmaak_f32 v7, v6, v7, 0xbd5c1c4e
	s_delay_alu instid0(VALU_DEP_1) | instskip(NEXT) | instid1(VALU_DEP_1)
	v_fmaak_f32 v7, v6, v7, 0x3e088382
	v_fmaak_f32 v7, v6, v7, 0xbeaaaa99
	s_delay_alu instid0(VALU_DEP_1) | instskip(NEXT) | instid1(VALU_DEP_1)
	v_mul_f32_e64 v7, |v5|, v7
	v_fma_f32 v6, v6, v7, |v5|
	s_branch .LBB65_2
.LBB65_7:
	s_nop 0
	s_sendmsg sendmsg(MSG_DEALLOC_VGPRS)
	s_endpgm
	.section	.rodata,"a",@progbits
	.p2align	6, 0x0
	.amdhsa_kernel _ZN4vllm17activation_kernelIfTnPFT_RKS1_EXadL_ZNS_15gelu_new_kernelIfEES1_S3_EELb0ELb0EEEvPS1_PS2_i
		.amdhsa_group_segment_fixed_size 0
		.amdhsa_private_segment_fixed_size 0
		.amdhsa_kernarg_size 280
		.amdhsa_user_sgpr_count 15
		.amdhsa_user_sgpr_dispatch_ptr 0
		.amdhsa_user_sgpr_queue_ptr 0
		.amdhsa_user_sgpr_kernarg_segment_ptr 1
		.amdhsa_user_sgpr_dispatch_id 0
		.amdhsa_user_sgpr_private_segment_size 0
		.amdhsa_wavefront_size32 1
		.amdhsa_uses_dynamic_stack 0
		.amdhsa_enable_private_segment 0
		.amdhsa_system_sgpr_workgroup_id_x 1
		.amdhsa_system_sgpr_workgroup_id_y 0
		.amdhsa_system_sgpr_workgroup_id_z 0
		.amdhsa_system_sgpr_workgroup_info 0
		.amdhsa_system_vgpr_workitem_id 0
		.amdhsa_next_free_vgpr 10
		.amdhsa_next_free_sgpr 16
		.amdhsa_reserve_vcc 1
		.amdhsa_float_round_mode_32 0
		.amdhsa_float_round_mode_16_64 0
		.amdhsa_float_denorm_mode_32 3
		.amdhsa_float_denorm_mode_16_64 3
		.amdhsa_dx10_clamp 1
		.amdhsa_ieee_mode 1
		.amdhsa_fp16_overflow 0
		.amdhsa_workgroup_processor_mode 1
		.amdhsa_memory_ordered 1
		.amdhsa_forward_progress 0
		.amdhsa_shared_vgpr_count 0
		.amdhsa_exception_fp_ieee_invalid_op 0
		.amdhsa_exception_fp_denorm_src 0
		.amdhsa_exception_fp_ieee_div_zero 0
		.amdhsa_exception_fp_ieee_overflow 0
		.amdhsa_exception_fp_ieee_underflow 0
		.amdhsa_exception_fp_ieee_inexact 0
		.amdhsa_exception_int_div_zero 0
	.end_amdhsa_kernel
	.section	.text._ZN4vllm17activation_kernelIfTnPFT_RKS1_EXadL_ZNS_15gelu_new_kernelIfEES1_S3_EELb0ELb0EEEvPS1_PS2_i,"axG",@progbits,_ZN4vllm17activation_kernelIfTnPFT_RKS1_EXadL_ZNS_15gelu_new_kernelIfEES1_S3_EELb0ELb0EEEvPS1_PS2_i,comdat
.Lfunc_end65:
	.size	_ZN4vllm17activation_kernelIfTnPFT_RKS1_EXadL_ZNS_15gelu_new_kernelIfEES1_S3_EELb0ELb0EEEvPS1_PS2_i, .Lfunc_end65-_ZN4vllm17activation_kernelIfTnPFT_RKS1_EXadL_ZNS_15gelu_new_kernelIfEES1_S3_EELb0ELb0EEEvPS1_PS2_i
                                        ; -- End function
	.section	.AMDGPU.csdata,"",@progbits
; Kernel info:
; codeLenInByte = 532
; NumSgprs: 18
; NumVgprs: 10
; ScratchSize: 0
; MemoryBound: 0
; FloatMode: 240
; IeeeMode: 1
; LDSByteSize: 0 bytes/workgroup (compile time only)
; SGPRBlocks: 2
; VGPRBlocks: 1
; NumSGPRsForWavesPerEU: 18
; NumVGPRsForWavesPerEU: 10
; Occupancy: 16
; WaveLimiterHint : 0
; COMPUTE_PGM_RSRC2:SCRATCH_EN: 0
; COMPUTE_PGM_RSRC2:USER_SGPR: 15
; COMPUTE_PGM_RSRC2:TRAP_HANDLER: 0
; COMPUTE_PGM_RSRC2:TGID_X_EN: 1
; COMPUTE_PGM_RSRC2:TGID_Y_EN: 0
; COMPUTE_PGM_RSRC2:TGID_Z_EN: 0
; COMPUTE_PGM_RSRC2:TIDIG_COMP_CNT: 0
	.section	.text._ZN4vllm17activation_kernelIN3c104HalfETnPFT_RKS3_EXadL_ZNS_15gelu_new_kernelIS2_EES3_S5_EELb0ELb0EEEvPS3_PS4_i,"axG",@progbits,_ZN4vllm17activation_kernelIN3c104HalfETnPFT_RKS3_EXadL_ZNS_15gelu_new_kernelIS2_EES3_S5_EELb0ELb0EEEvPS3_PS4_i,comdat
	.protected	_ZN4vllm17activation_kernelIN3c104HalfETnPFT_RKS3_EXadL_ZNS_15gelu_new_kernelIS2_EES3_S5_EELb0ELb0EEEvPS3_PS4_i ; -- Begin function _ZN4vllm17activation_kernelIN3c104HalfETnPFT_RKS3_EXadL_ZNS_15gelu_new_kernelIS2_EES3_S5_EELb0ELb0EEEvPS3_PS4_i
	.globl	_ZN4vllm17activation_kernelIN3c104HalfETnPFT_RKS3_EXadL_ZNS_15gelu_new_kernelIS2_EES3_S5_EELb0ELb0EEEvPS3_PS4_i
	.p2align	8
	.type	_ZN4vllm17activation_kernelIN3c104HalfETnPFT_RKS3_EXadL_ZNS_15gelu_new_kernelIS2_EES3_S5_EELb0ELb0EEEvPS3_PS4_i,@function
_ZN4vllm17activation_kernelIN3c104HalfETnPFT_RKS3_EXadL_ZNS_15gelu_new_kernelIS2_EES3_S5_EELb0ELb0EEEvPS3_PS4_i: ; @_ZN4vllm17activation_kernelIN3c104HalfETnPFT_RKS3_EXadL_ZNS_15gelu_new_kernelIS2_EES3_S5_EELb0ELb0EEEvPS3_PS4_i
; %bb.0:
	s_load_b32 s2, s[0:1], 0x10
	s_mov_b32 s3, exec_lo
	s_waitcnt lgkmcnt(0)
	v_cmpx_gt_i32_e64 s2, v0
	s_cbranch_execz .LBB66_7
; %bb.1:
	s_clause 0x1
	s_load_b32 s9, s[0:1], 0x24
	s_load_b128 s[4:7], s[0:1], 0x0
	v_dual_mov_b32 v1, 0 :: v_dual_lshlrev_b32 v2, 1, v0
	s_mul_i32 s0, s15, s2
	s_mov_b32 s1, 0
	s_ashr_i32 s3, s2, 31
	s_lshl_b64 s[10:11], s[0:1], 1
	s_mov_b32 s8, 0x3d372713
	v_add_co_u32 v2, s0, v2, s10
	s_delay_alu instid0(VALU_DEP_1) | instskip(SKIP_4) | instid1(SALU_CYCLE_1)
	v_add_co_ci_u32_e64 v3, null, 0, s11, s0
	s_mov_b32 s10, 0x3f4c422a
	s_mov_b32 s12, 0xbbbac73d
	s_waitcnt lgkmcnt(0)
	s_and_b32 s9, s9, 0xffff
	s_lshl_b32 s11, s9, 1
	s_branch .LBB66_3
.LBB66_2:                               ;   in Loop: Header=BB66_3 Depth=1
	s_or_b32 exec_lo, exec_lo, s0
	s_waitcnt_depctr 0xfff
	v_cvt_f16_f32_e32 v6, v6
	v_lshrrev_b32_e32 v5, 16, v5
	v_mul_f16_e32 v7, 0.5, v4
	v_add_co_u32 v0, vcc_lo, v0, s9
	v_add_co_ci_u32_e32 v1, vcc_lo, 0, v1, vcc_lo
	s_delay_alu instid0(VALU_DEP_4) | instskip(NEXT) | instid1(VALU_DEP_1)
	v_bfi_b32 v4, 0x7fff, v6, v5
	v_add_f16_e32 v6, 1.0, v4
	v_add_co_u32 v4, vcc_lo, s4, v2
	v_add_co_ci_u32_e32 v5, vcc_lo, s5, v3, vcc_lo
	v_cmp_le_i64_e32 vcc_lo, s[2:3], v[0:1]
	v_add_co_u32 v2, s0, v2, s11
	v_mul_f16_e32 v6, v7, v6
	v_add_co_ci_u32_e64 v3, s0, 0, v3, s0
	s_or_b32 s1, vcc_lo, s1
	global_store_b16 v[4:5], v6, off
	s_and_not1_b32 exec_lo, exec_lo, s1
	s_cbranch_execz .LBB66_7
.LBB66_3:                               ; =>This Inner Loop Header: Depth=1
	v_add_co_u32 v4, vcc_lo, s6, v2
	v_add_co_ci_u32_e32 v5, vcc_lo, s7, v3, vcc_lo
                                        ; implicit-def: $vgpr6
	global_load_u16 v4, v[4:5], off
	s_waitcnt vmcnt(0)
	v_mul_f16_e32 v5, v4, v4
	s_delay_alu instid0(VALU_DEP_1) | instskip(NEXT) | instid1(VALU_DEP_1)
	v_mul_f16_e32 v5, v4, v5
	v_fma_mixlo_f16 v5, v5, s8, 0 op_sel_hi:[1,0,0]
	s_delay_alu instid0(VALU_DEP_1) | instskip(NEXT) | instid1(VALU_DEP_1)
	v_add_f16_e32 v5, v4, v5
	v_fma_mixlo_f16 v5, v5, s10, 0 op_sel_hi:[1,0,0]
	s_delay_alu instid0(VALU_DEP_1) | instskip(NEXT) | instid1(VALU_DEP_1)
	v_cvt_f32_f16_e32 v5, v5
	v_cmp_ngt_f32_e64 s0, 0x3f200000, |v5|
	s_delay_alu instid0(VALU_DEP_1) | instskip(NEXT) | instid1(SALU_CYCLE_1)
	s_and_saveexec_b32 s13, s0
	s_xor_b32 s0, exec_lo, s13
	s_cbranch_execz .LBB66_5
; %bb.4:                                ;   in Loop: Header=BB66_3 Depth=1
	v_add_f32_e64 v6, |v5|, |v5|
	s_delay_alu instid0(VALU_DEP_1) | instskip(SKIP_1) | instid1(VALU_DEP_2)
	v_mul_f32_e32 v7, 0x3fb8aa3b, v6
	v_cmp_ngt_f32_e32 vcc_lo, 0xc2ce8ed0, v6
	v_rndne_f32_e32 v8, v7
	v_fma_f32 v9, 0x3fb8aa3b, v6, -v7
	s_delay_alu instid0(VALU_DEP_2) | instskip(NEXT) | instid1(VALU_DEP_2)
	v_sub_f32_e32 v7, v7, v8
	v_fmac_f32_e32 v9, 0x32a5705f, v6
	v_cvt_i32_f32_e32 v8, v8
	s_delay_alu instid0(VALU_DEP_2) | instskip(NEXT) | instid1(VALU_DEP_1)
	v_add_f32_e32 v7, v7, v9
	v_exp_f32_e32 v7, v7
	s_waitcnt_depctr 0xfff
	v_ldexp_f32 v7, v7, v8
	s_delay_alu instid0(VALU_DEP_1) | instskip(SKIP_1) | instid1(VALU_DEP_2)
	v_cndmask_b32_e32 v7, 0, v7, vcc_lo
	v_cmp_nlt_f32_e32 vcc_lo, 0x42b17218, v6
	v_cndmask_b32_e32 v6, 0x7f800000, v7, vcc_lo
	s_delay_alu instid0(VALU_DEP_1) | instskip(NEXT) | instid1(VALU_DEP_1)
	v_add_f32_e32 v6, 1.0, v6
	v_rcp_f32_e32 v6, v6
	s_waitcnt_depctr 0xfff
	v_fma_f32 v6, v6, -2.0, 1.0
.LBB66_5:                               ;   in Loop: Header=BB66_3 Depth=1
	s_and_not1_saveexec_b32 s0, s0
	s_cbranch_execz .LBB66_2
; %bb.6:                                ;   in Loop: Header=BB66_3 Depth=1
	v_mul_f32_e32 v6, v5, v5
	s_delay_alu instid0(VALU_DEP_1) | instskip(NEXT) | instid1(VALU_DEP_1)
	v_fmaak_f32 v7, s12, v6, 0x3ca908c9
	v_fmaak_f32 v7, v6, v7, 0xbd5c1c4e
	s_delay_alu instid0(VALU_DEP_1) | instskip(NEXT) | instid1(VALU_DEP_1)
	v_fmaak_f32 v7, v6, v7, 0x3e088382
	v_fmaak_f32 v7, v6, v7, 0xbeaaaa99
	s_delay_alu instid0(VALU_DEP_1) | instskip(NEXT) | instid1(VALU_DEP_1)
	v_mul_f32_e64 v7, |v5|, v7
	v_fma_f32 v6, v6, v7, |v5|
	s_branch .LBB66_2
.LBB66_7:
	s_nop 0
	s_sendmsg sendmsg(MSG_DEALLOC_VGPRS)
	s_endpgm
	.section	.rodata,"a",@progbits
	.p2align	6, 0x0
	.amdhsa_kernel _ZN4vllm17activation_kernelIN3c104HalfETnPFT_RKS3_EXadL_ZNS_15gelu_new_kernelIS2_EES3_S5_EELb0ELb0EEEvPS3_PS4_i
		.amdhsa_group_segment_fixed_size 0
		.amdhsa_private_segment_fixed_size 0
		.amdhsa_kernarg_size 280
		.amdhsa_user_sgpr_count 15
		.amdhsa_user_sgpr_dispatch_ptr 0
		.amdhsa_user_sgpr_queue_ptr 0
		.amdhsa_user_sgpr_kernarg_segment_ptr 1
		.amdhsa_user_sgpr_dispatch_id 0
		.amdhsa_user_sgpr_private_segment_size 0
		.amdhsa_wavefront_size32 1
		.amdhsa_uses_dynamic_stack 0
		.amdhsa_enable_private_segment 0
		.amdhsa_system_sgpr_workgroup_id_x 1
		.amdhsa_system_sgpr_workgroup_id_y 0
		.amdhsa_system_sgpr_workgroup_id_z 0
		.amdhsa_system_sgpr_workgroup_info 0
		.amdhsa_system_vgpr_workitem_id 0
		.amdhsa_next_free_vgpr 10
		.amdhsa_next_free_sgpr 16
		.amdhsa_reserve_vcc 1
		.amdhsa_float_round_mode_32 0
		.amdhsa_float_round_mode_16_64 0
		.amdhsa_float_denorm_mode_32 3
		.amdhsa_float_denorm_mode_16_64 3
		.amdhsa_dx10_clamp 1
		.amdhsa_ieee_mode 1
		.amdhsa_fp16_overflow 0
		.amdhsa_workgroup_processor_mode 1
		.amdhsa_memory_ordered 1
		.amdhsa_forward_progress 0
		.amdhsa_shared_vgpr_count 0
		.amdhsa_exception_fp_ieee_invalid_op 0
		.amdhsa_exception_fp_denorm_src 0
		.amdhsa_exception_fp_ieee_div_zero 0
		.amdhsa_exception_fp_ieee_overflow 0
		.amdhsa_exception_fp_ieee_underflow 0
		.amdhsa_exception_fp_ieee_inexact 0
		.amdhsa_exception_int_div_zero 0
	.end_amdhsa_kernel
	.section	.text._ZN4vllm17activation_kernelIN3c104HalfETnPFT_RKS3_EXadL_ZNS_15gelu_new_kernelIS2_EES3_S5_EELb0ELb0EEEvPS3_PS4_i,"axG",@progbits,_ZN4vllm17activation_kernelIN3c104HalfETnPFT_RKS3_EXadL_ZNS_15gelu_new_kernelIS2_EES3_S5_EELb0ELb0EEEvPS3_PS4_i,comdat
.Lfunc_end66:
	.size	_ZN4vllm17activation_kernelIN3c104HalfETnPFT_RKS3_EXadL_ZNS_15gelu_new_kernelIS2_EES3_S5_EELb0ELb0EEEvPS3_PS4_i, .Lfunc_end66-_ZN4vllm17activation_kernelIN3c104HalfETnPFT_RKS3_EXadL_ZNS_15gelu_new_kernelIS2_EES3_S5_EELb0ELb0EEEvPS3_PS4_i
                                        ; -- End function
	.section	.AMDGPU.csdata,"",@progbits
; Kernel info:
; codeLenInByte = 564
; NumSgprs: 18
; NumVgprs: 10
; ScratchSize: 0
; MemoryBound: 0
; FloatMode: 240
; IeeeMode: 1
; LDSByteSize: 0 bytes/workgroup (compile time only)
; SGPRBlocks: 2
; VGPRBlocks: 1
; NumSGPRsForWavesPerEU: 18
; NumVGPRsForWavesPerEU: 10
; Occupancy: 16
; WaveLimiterHint : 0
; COMPUTE_PGM_RSRC2:SCRATCH_EN: 0
; COMPUTE_PGM_RSRC2:USER_SGPR: 15
; COMPUTE_PGM_RSRC2:TRAP_HANDLER: 0
; COMPUTE_PGM_RSRC2:TGID_X_EN: 1
; COMPUTE_PGM_RSRC2:TGID_Y_EN: 0
; COMPUTE_PGM_RSRC2:TGID_Z_EN: 0
; COMPUTE_PGM_RSRC2:TIDIG_COMP_CNT: 0
	.section	.text._ZN4vllm17activation_kernelIN3c108BFloat16ETnPFT_RKS3_EXadL_ZNS_15gelu_new_kernelIS2_EES3_S5_EELb0ELb0EEEvPS3_PS4_i,"axG",@progbits,_ZN4vllm17activation_kernelIN3c108BFloat16ETnPFT_RKS3_EXadL_ZNS_15gelu_new_kernelIS2_EES3_S5_EELb0ELb0EEEvPS3_PS4_i,comdat
	.protected	_ZN4vllm17activation_kernelIN3c108BFloat16ETnPFT_RKS3_EXadL_ZNS_15gelu_new_kernelIS2_EES3_S5_EELb0ELb0EEEvPS3_PS4_i ; -- Begin function _ZN4vllm17activation_kernelIN3c108BFloat16ETnPFT_RKS3_EXadL_ZNS_15gelu_new_kernelIS2_EES3_S5_EELb0ELb0EEEvPS3_PS4_i
	.globl	_ZN4vllm17activation_kernelIN3c108BFloat16ETnPFT_RKS3_EXadL_ZNS_15gelu_new_kernelIS2_EES3_S5_EELb0ELb0EEEvPS3_PS4_i
	.p2align	8
	.type	_ZN4vllm17activation_kernelIN3c108BFloat16ETnPFT_RKS3_EXadL_ZNS_15gelu_new_kernelIS2_EES3_S5_EELb0ELb0EEEvPS3_PS4_i,@function
_ZN4vllm17activation_kernelIN3c108BFloat16ETnPFT_RKS3_EXadL_ZNS_15gelu_new_kernelIS2_EES3_S5_EELb0ELb0EEEvPS3_PS4_i: ; @_ZN4vllm17activation_kernelIN3c108BFloat16ETnPFT_RKS3_EXadL_ZNS_15gelu_new_kernelIS2_EES3_S5_EELb0ELb0EEEvPS3_PS4_i
; %bb.0:
	s_load_b32 s2, s[0:1], 0x10
	s_mov_b32 s3, exec_lo
	s_waitcnt lgkmcnt(0)
	v_cmpx_gt_i32_e64 s2, v0
	s_cbranch_execz .LBB67_7
; %bb.1:
	s_clause 0x1
	s_load_b32 s3, s[0:1], 0x24
	s_load_b128 s[4:7], s[0:1], 0x0
	v_dual_mov_b32 v1, 0 :: v_dual_lshlrev_b32 v2, 1, v0
	s_mul_i32 s0, s15, s2
	s_mov_b32 s1, 0
	s_mov_b32 s10, 0xbbbac73d
	s_lshl_b64 s[8:9], s[0:1], 1
	s_delay_alu instid0(SALU_CYCLE_1) | instskip(NEXT) | instid1(VALU_DEP_1)
	v_add_co_u32 v2, s0, v2, s8
	v_add_co_ci_u32_e64 v3, null, 0, s9, s0
	s_waitcnt lgkmcnt(0)
	s_and_b32 s8, s3, 0xffff
	s_ashr_i32 s3, s2, 31
	s_lshl_b32 s9, s8, 1
	s_branch .LBB67_3
.LBB67_2:                               ;   in Loop: Header=BB67_3 Depth=1
	s_or_b32 exec_lo, exec_lo, s0
	s_waitcnt_depctr 0xfff
	v_bfi_b32 v5, 0x7fffffff, v6, v5
	s_delay_alu instid0(VALU_DEP_1) | instskip(SKIP_1) | instid1(VALU_DEP_2)
	v_bfe_u32 v6, v5, 16, 1
	v_cmp_o_f32_e32 vcc_lo, v5, v5
	v_add3_u32 v6, v5, v6, 0x7fff
	s_delay_alu instid0(VALU_DEP_1) | instskip(NEXT) | instid1(VALU_DEP_1)
	v_and_b32_e32 v6, 0xffff0000, v6
	v_add_f32_e32 v6, 1.0, v6
	s_delay_alu instid0(VALU_DEP_1) | instskip(NEXT) | instid1(VALU_DEP_1)
	v_dual_mul_f32 v4, 0.5, v4 :: v_dual_cndmask_b32 v5, 0x7fc00000, v6
	v_bfe_u32 v6, v4, 16, 1
	v_cmp_o_f32_e32 vcc_lo, v4, v4
	s_delay_alu instid0(VALU_DEP_3) | instskip(NEXT) | instid1(VALU_DEP_3)
	v_bfe_u32 v7, v5, 16, 1
	v_add3_u32 v6, v4, v6, 0x7fff
	s_delay_alu instid0(VALU_DEP_2) | instskip(NEXT) | instid1(VALU_DEP_2)
	v_add3_u32 v7, v5, v7, 0x7fff
	v_and_b32_e32 v6, 0xffff0000, v6
	s_delay_alu instid0(VALU_DEP_2) | instskip(NEXT) | instid1(VALU_DEP_2)
	v_and_b32_e32 v7, 0xffff0000, v7
	v_cndmask_b32_e32 v4, 0x7fc00000, v6, vcc_lo
	v_cmp_o_f32_e32 vcc_lo, v5, v5
	s_delay_alu instid0(VALU_DEP_3) | instskip(SKIP_2) | instid1(VALU_DEP_3)
	v_cndmask_b32_e32 v5, 0x7fc00000, v7, vcc_lo
	v_add_co_u32 v0, vcc_lo, v0, s8
	v_add_co_ci_u32_e32 v1, vcc_lo, 0, v1, vcc_lo
	v_mul_f32_e32 v6, v4, v5
	s_delay_alu instid0(VALU_DEP_1) | instskip(SKIP_1) | instid1(VALU_DEP_2)
	v_bfe_u32 v4, v6, 16, 1
	v_cmp_o_f32_e64 s0, v6, v6
	v_add3_u32 v4, v6, v4, 0x7fff
	s_delay_alu instid0(VALU_DEP_1) | instskip(SKIP_3) | instid1(VALU_DEP_4)
	v_lshrrev_b32_e32 v7, 16, v4
	v_add_co_u32 v4, vcc_lo, s4, v2
	v_add_co_ci_u32_e32 v5, vcc_lo, s5, v3, vcc_lo
	v_cmp_le_i64_e32 vcc_lo, s[2:3], v[0:1]
	v_cndmask_b32_e64 v6, 0x7fc0, v7, s0
	v_add_co_u32 v2, s0, v2, s9
	s_delay_alu instid0(VALU_DEP_1)
	v_add_co_ci_u32_e64 v3, s0, 0, v3, s0
	s_or_b32 s1, vcc_lo, s1
	global_store_b16 v[4:5], v6, off
	s_and_not1_b32 exec_lo, exec_lo, s1
	s_cbranch_execz .LBB67_7
.LBB67_3:                               ; =>This Inner Loop Header: Depth=1
	v_add_co_u32 v4, vcc_lo, s6, v2
	v_add_co_ci_u32_e32 v5, vcc_lo, s7, v3, vcc_lo
	s_mov_b32 s11, exec_lo
	global_load_u16 v4, v[4:5], off
	s_waitcnt vmcnt(0)
	v_lshlrev_b32_e32 v4, 16, v4
	s_delay_alu instid0(VALU_DEP_1) | instskip(NEXT) | instid1(VALU_DEP_1)
	v_mul_f32_e32 v5, v4, v4
	v_bfe_u32 v6, v5, 16, 1
	s_delay_alu instid0(VALU_DEP_1) | instskip(NEXT) | instid1(VALU_DEP_1)
	v_add3_u32 v6, v5, v6, 0x7fff
	v_and_b32_e32 v6, 0xffff0000, v6
	v_cmp_o_f32_e32 vcc_lo, v5, v5
	s_delay_alu instid0(VALU_DEP_2) | instskip(NEXT) | instid1(VALU_DEP_1)
	v_cndmask_b32_e32 v5, 0x7fc00000, v6, vcc_lo
	v_mul_f32_e32 v5, v5, v4
	s_delay_alu instid0(VALU_DEP_1) | instskip(NEXT) | instid1(VALU_DEP_1)
	v_bfe_u32 v6, v5, 16, 1
	v_add3_u32 v6, v5, v6, 0x7fff
	s_delay_alu instid0(VALU_DEP_1) | instskip(SKIP_1) | instid1(VALU_DEP_2)
	v_and_b32_e32 v6, 0xffff0000, v6
	v_cmp_o_f32_e32 vcc_lo, v5, v5
	v_mul_f32_e32 v6, 0x3d372713, v6
	s_delay_alu instid0(VALU_DEP_1) | instskip(NEXT) | instid1(VALU_DEP_1)
	v_cndmask_b32_e32 v5, 0x7fc00000, v6, vcc_lo
	v_bfe_u32 v6, v5, 16, 1
	v_cmp_o_f32_e32 vcc_lo, v5, v5
	s_delay_alu instid0(VALU_DEP_2) | instskip(NEXT) | instid1(VALU_DEP_1)
	v_add3_u32 v6, v5, v6, 0x7fff
	v_and_b32_e32 v6, 0xffff0000, v6
	s_delay_alu instid0(VALU_DEP_1) | instskip(NEXT) | instid1(VALU_DEP_1)
	v_cndmask_b32_e32 v5, 0x7fc00000, v6, vcc_lo
	v_add_f32_e32 v5, v5, v4
	s_delay_alu instid0(VALU_DEP_1) | instskip(SKIP_1) | instid1(VALU_DEP_2)
	v_bfe_u32 v6, v5, 16, 1
	v_cmp_o_f32_e32 vcc_lo, v5, v5
	v_add3_u32 v6, v5, v6, 0x7fff
	s_delay_alu instid0(VALU_DEP_1) | instskip(NEXT) | instid1(VALU_DEP_1)
	v_and_b32_e32 v6, 0xffff0000, v6
	v_mul_f32_e32 v6, 0x3f4c422a, v6
	s_delay_alu instid0(VALU_DEP_1) | instskip(NEXT) | instid1(VALU_DEP_1)
	v_cndmask_b32_e32 v6, 0x7fc00000, v6, vcc_lo
	v_bfe_u32 v5, v6, 16, 1
	v_cmp_u_f32_e32 vcc_lo, v6, v6
	s_delay_alu instid0(VALU_DEP_2) | instskip(NEXT) | instid1(VALU_DEP_1)
	v_add3_u32 v5, v6, v5, 0x7fff
	v_and_b32_e32 v5, 0xffff0000, v5
	s_delay_alu instid0(VALU_DEP_1) | instskip(NEXT) | instid1(VALU_DEP_1)
	v_cndmask_b32_e64 v6, |v5|, 0x7fc00000, vcc_lo
	v_cmpx_ngt_f32_e32 0x3f200000, v6
	s_xor_b32 s11, exec_lo, s11
	s_cbranch_execz .LBB67_5
; %bb.4:                                ;   in Loop: Header=BB67_3 Depth=1
	v_add_f32_e32 v6, v6, v6
	s_delay_alu instid0(VALU_DEP_1) | instskip(NEXT) | instid1(VALU_DEP_1)
	v_mul_f32_e32 v7, 0x3fb8aa3b, v6
	v_rndne_f32_e32 v8, v7
	v_fma_f32 v9, 0x3fb8aa3b, v6, -v7
	s_delay_alu instid0(VALU_DEP_2) | instskip(NEXT) | instid1(VALU_DEP_2)
	v_sub_f32_e32 v7, v7, v8
	v_fmac_f32_e32 v9, 0x32a5705f, v6
	v_cvt_i32_f32_e32 v8, v8
	v_cmp_ngt_f32_e64 s0, 0xc2ce8ed0, v6
	s_delay_alu instid0(VALU_DEP_3) | instskip(NEXT) | instid1(VALU_DEP_1)
	v_add_f32_e32 v7, v7, v9
	v_exp_f32_e32 v7, v7
	s_waitcnt_depctr 0xfff
	v_ldexp_f32 v7, v7, v8
	s_delay_alu instid0(VALU_DEP_1) | instskip(SKIP_1) | instid1(VALU_DEP_1)
	v_cndmask_b32_e64 v7, 0, v7, s0
	v_cmp_nlt_f32_e64 s0, 0x42b17218, v6
	v_cndmask_b32_e64 v6, 0x7f800000, v7, s0
	s_delay_alu instid0(VALU_DEP_1) | instskip(NEXT) | instid1(VALU_DEP_1)
	v_add_f32_e32 v6, 1.0, v6
	v_rcp_f32_e32 v6, v6
	s_waitcnt_depctr 0xfff
	v_fma_f32 v6, v6, -2.0, 1.0
.LBB67_5:                               ;   in Loop: Header=BB67_3 Depth=1
	s_or_saveexec_b32 s0, s11
	v_cndmask_b32_e64 v5, v5, 0x7fc00000, vcc_lo
	s_xor_b32 exec_lo, exec_lo, s0
	s_cbranch_execz .LBB67_2
; %bb.6:                                ;   in Loop: Header=BB67_3 Depth=1
	s_delay_alu instid0(VALU_DEP_1) | instskip(NEXT) | instid1(VALU_DEP_1)
	v_mul_f32_e32 v7, v5, v5
	v_fmaak_f32 v8, s10, v7, 0x3ca908c9
	s_delay_alu instid0(VALU_DEP_1) | instskip(NEXT) | instid1(VALU_DEP_1)
	v_fmaak_f32 v8, v7, v8, 0xbd5c1c4e
	v_fmaak_f32 v8, v7, v8, 0x3e088382
	s_delay_alu instid0(VALU_DEP_1) | instskip(NEXT) | instid1(VALU_DEP_1)
	v_fmaak_f32 v8, v7, v8, 0xbeaaaa99
	v_mul_f32_e32 v8, v6, v8
	s_delay_alu instid0(VALU_DEP_1)
	v_fmac_f32_e32 v6, v7, v8
	s_branch .LBB67_2
.LBB67_7:
	s_nop 0
	s_sendmsg sendmsg(MSG_DEALLOC_VGPRS)
	s_endpgm
	.section	.rodata,"a",@progbits
	.p2align	6, 0x0
	.amdhsa_kernel _ZN4vllm17activation_kernelIN3c108BFloat16ETnPFT_RKS3_EXadL_ZNS_15gelu_new_kernelIS2_EES3_S5_EELb0ELb0EEEvPS3_PS4_i
		.amdhsa_group_segment_fixed_size 0
		.amdhsa_private_segment_fixed_size 0
		.amdhsa_kernarg_size 280
		.amdhsa_user_sgpr_count 15
		.amdhsa_user_sgpr_dispatch_ptr 0
		.amdhsa_user_sgpr_queue_ptr 0
		.amdhsa_user_sgpr_kernarg_segment_ptr 1
		.amdhsa_user_sgpr_dispatch_id 0
		.amdhsa_user_sgpr_private_segment_size 0
		.amdhsa_wavefront_size32 1
		.amdhsa_uses_dynamic_stack 0
		.amdhsa_enable_private_segment 0
		.amdhsa_system_sgpr_workgroup_id_x 1
		.amdhsa_system_sgpr_workgroup_id_y 0
		.amdhsa_system_sgpr_workgroup_id_z 0
		.amdhsa_system_sgpr_workgroup_info 0
		.amdhsa_system_vgpr_workitem_id 0
		.amdhsa_next_free_vgpr 10
		.amdhsa_next_free_sgpr 16
		.amdhsa_reserve_vcc 1
		.amdhsa_float_round_mode_32 0
		.amdhsa_float_round_mode_16_64 0
		.amdhsa_float_denorm_mode_32 3
		.amdhsa_float_denorm_mode_16_64 3
		.amdhsa_dx10_clamp 1
		.amdhsa_ieee_mode 1
		.amdhsa_fp16_overflow 0
		.amdhsa_workgroup_processor_mode 1
		.amdhsa_memory_ordered 1
		.amdhsa_forward_progress 0
		.amdhsa_shared_vgpr_count 0
		.amdhsa_exception_fp_ieee_invalid_op 0
		.amdhsa_exception_fp_denorm_src 0
		.amdhsa_exception_fp_ieee_div_zero 0
		.amdhsa_exception_fp_ieee_overflow 0
		.amdhsa_exception_fp_ieee_underflow 0
		.amdhsa_exception_fp_ieee_inexact 0
		.amdhsa_exception_int_div_zero 0
	.end_amdhsa_kernel
	.section	.text._ZN4vllm17activation_kernelIN3c108BFloat16ETnPFT_RKS3_EXadL_ZNS_15gelu_new_kernelIS2_EES3_S5_EELb0ELb0EEEvPS3_PS4_i,"axG",@progbits,_ZN4vllm17activation_kernelIN3c108BFloat16ETnPFT_RKS3_EXadL_ZNS_15gelu_new_kernelIS2_EES3_S5_EELb0ELb0EEEvPS3_PS4_i,comdat
.Lfunc_end67:
	.size	_ZN4vllm17activation_kernelIN3c108BFloat16ETnPFT_RKS3_EXadL_ZNS_15gelu_new_kernelIS2_EES3_S5_EELb0ELb0EEEvPS3_PS4_i, .Lfunc_end67-_ZN4vllm17activation_kernelIN3c108BFloat16ETnPFT_RKS3_EXadL_ZNS_15gelu_new_kernelIS2_EES3_S5_EELb0ELb0EEEvPS3_PS4_i
                                        ; -- End function
	.section	.AMDGPU.csdata,"",@progbits
; Kernel info:
; codeLenInByte = 1000
; NumSgprs: 18
; NumVgprs: 10
; ScratchSize: 0
; MemoryBound: 0
; FloatMode: 240
; IeeeMode: 1
; LDSByteSize: 0 bytes/workgroup (compile time only)
; SGPRBlocks: 2
; VGPRBlocks: 1
; NumSGPRsForWavesPerEU: 18
; NumVGPRsForWavesPerEU: 10
; Occupancy: 16
; WaveLimiterHint : 0
; COMPUTE_PGM_RSRC2:SCRATCH_EN: 0
; COMPUTE_PGM_RSRC2:USER_SGPR: 15
; COMPUTE_PGM_RSRC2:TRAP_HANDLER: 0
; COMPUTE_PGM_RSRC2:TGID_X_EN: 1
; COMPUTE_PGM_RSRC2:TGID_Y_EN: 0
; COMPUTE_PGM_RSRC2:TGID_Z_EN: 0
; COMPUTE_PGM_RSRC2:TIDIG_COMP_CNT: 0
	.section	.text._ZN4vllm17activation_kernelIfTnPFT_RKS1_EXadL_ZNS_16gelu_fast_kernelIfEES1_S3_EELb1ELb1EEEvPS1_PS2_i,"axG",@progbits,_ZN4vllm17activation_kernelIfTnPFT_RKS1_EXadL_ZNS_16gelu_fast_kernelIfEES1_S3_EELb1ELb1EEEvPS1_PS2_i,comdat
	.protected	_ZN4vllm17activation_kernelIfTnPFT_RKS1_EXadL_ZNS_16gelu_fast_kernelIfEES1_S3_EELb1ELb1EEEvPS1_PS2_i ; -- Begin function _ZN4vllm17activation_kernelIfTnPFT_RKS1_EXadL_ZNS_16gelu_fast_kernelIfEES1_S3_EELb1ELb1EEEvPS1_PS2_i
	.globl	_ZN4vllm17activation_kernelIfTnPFT_RKS1_EXadL_ZNS_16gelu_fast_kernelIfEES1_S3_EELb1ELb1EEEvPS1_PS2_i
	.p2align	8
	.type	_ZN4vllm17activation_kernelIfTnPFT_RKS1_EXadL_ZNS_16gelu_fast_kernelIfEES1_S3_EELb1ELb1EEEvPS1_PS2_i,@function
_ZN4vllm17activation_kernelIfTnPFT_RKS1_EXadL_ZNS_16gelu_fast_kernelIfEES1_S3_EELb1ELb1EEEvPS1_PS2_i: ; @_ZN4vllm17activation_kernelIfTnPFT_RKS1_EXadL_ZNS_16gelu_fast_kernelIfEES1_S3_EELb1ELb1EEEvPS1_PS2_i
; %bb.0:
	s_load_b32 s2, s[0:1], 0x10
	s_mov_b32 s32, 0
	s_waitcnt lgkmcnt(0)
	s_ashr_i32 s3, s2, 31
	s_delay_alu instid0(SALU_CYCLE_1) | instskip(NEXT) | instid1(SALU_CYCLE_1)
	s_lshr_b32 s3, s3, 29
	s_add_i32 s2, s2, s3
	s_delay_alu instid0(SALU_CYCLE_1) | instskip(NEXT) | instid1(SALU_CYCLE_1)
	s_ashr_i32 s2, s2, 3
	v_cmp_gt_i32_e32 vcc_lo, s2, v0
	s_and_saveexec_b32 s2, vcc_lo
	s_cbranch_execz .LBB68_2
; %bb.1:
	s_add_u32 s8, s0, 24
	s_addc_u32 s9, s1, 0
	s_getpc_b64 s[0:1]
	s_add_u32 s0, s0, .str@rel32@lo+4
	s_addc_u32 s1, s1, .str@rel32@hi+12
	s_getpc_b64 s[2:3]
	s_add_u32 s2, s2, __PRETTY_FUNCTION__._ZN4vllm5ld256ERNS_7u32x8_tEPKS0_@rel32@lo+4
	s_addc_u32 s3, s3, __PRETTY_FUNCTION__._ZN4vllm5ld256ERNS_7u32x8_tEPKS0_@rel32@hi+12
	v_dual_mov_b32 v0, s0 :: v_dual_mov_b32 v1, s1
	v_dual_mov_b32 v2, 0x93 :: v_dual_mov_b32 v3, s2
	v_mov_b32_e32 v4, s3
	s_getpc_b64 s[4:5]
	s_add_u32 s4, s4, __assert_fail@rel32@lo+4
	s_addc_u32 s5, s5, __assert_fail@rel32@hi+12
	s_delay_alu instid0(SALU_CYCLE_1)
	s_swappc_b64 s[30:31], s[4:5]
	; divergent unreachable
.LBB68_2:
	s_endpgm
	.section	.rodata,"a",@progbits
	.p2align	6, 0x0
	.amdhsa_kernel _ZN4vllm17activation_kernelIfTnPFT_RKS1_EXadL_ZNS_16gelu_fast_kernelIfEES1_S3_EELb1ELb1EEEvPS1_PS2_i
		.amdhsa_group_segment_fixed_size 0
		.amdhsa_private_segment_fixed_size 64
		.amdhsa_kernarg_size 280
		.amdhsa_user_sgpr_count 15
		.amdhsa_user_sgpr_dispatch_ptr 0
		.amdhsa_user_sgpr_queue_ptr 0
		.amdhsa_user_sgpr_kernarg_segment_ptr 1
		.amdhsa_user_sgpr_dispatch_id 0
		.amdhsa_user_sgpr_private_segment_size 0
		.amdhsa_wavefront_size32 1
		.amdhsa_uses_dynamic_stack 0
		.amdhsa_enable_private_segment 1
		.amdhsa_system_sgpr_workgroup_id_x 1
		.amdhsa_system_sgpr_workgroup_id_y 0
		.amdhsa_system_sgpr_workgroup_id_z 0
		.amdhsa_system_sgpr_workgroup_info 0
		.amdhsa_system_vgpr_workitem_id 0
		.amdhsa_next_free_vgpr 51
		.amdhsa_next_free_sgpr 34
		.amdhsa_reserve_vcc 1
		.amdhsa_float_round_mode_32 0
		.amdhsa_float_round_mode_16_64 0
		.amdhsa_float_denorm_mode_32 3
		.amdhsa_float_denorm_mode_16_64 3
		.amdhsa_dx10_clamp 1
		.amdhsa_ieee_mode 1
		.amdhsa_fp16_overflow 0
		.amdhsa_workgroup_processor_mode 1
		.amdhsa_memory_ordered 1
		.amdhsa_forward_progress 0
		.amdhsa_shared_vgpr_count 0
		.amdhsa_exception_fp_ieee_invalid_op 0
		.amdhsa_exception_fp_denorm_src 0
		.amdhsa_exception_fp_ieee_div_zero 0
		.amdhsa_exception_fp_ieee_overflow 0
		.amdhsa_exception_fp_ieee_underflow 0
		.amdhsa_exception_fp_ieee_inexact 0
		.amdhsa_exception_int_div_zero 0
	.end_amdhsa_kernel
	.section	.text._ZN4vllm17activation_kernelIfTnPFT_RKS1_EXadL_ZNS_16gelu_fast_kernelIfEES1_S3_EELb1ELb1EEEvPS1_PS2_i,"axG",@progbits,_ZN4vllm17activation_kernelIfTnPFT_RKS1_EXadL_ZNS_16gelu_fast_kernelIfEES1_S3_EELb1ELb1EEEvPS1_PS2_i,comdat
.Lfunc_end68:
	.size	_ZN4vllm17activation_kernelIfTnPFT_RKS1_EXadL_ZNS_16gelu_fast_kernelIfEES1_S3_EELb1ELb1EEEvPS1_PS2_i, .Lfunc_end68-_ZN4vllm17activation_kernelIfTnPFT_RKS1_EXadL_ZNS_16gelu_fast_kernelIfEES1_S3_EELb1ELb1EEEvPS1_PS2_i
                                        ; -- End function
	.section	.AMDGPU.csdata,"",@progbits
; Kernel info:
; codeLenInByte = 156
; NumSgprs: 36
; NumVgprs: 51
; ScratchSize: 64
; MemoryBound: 0
; FloatMode: 240
; IeeeMode: 1
; LDSByteSize: 0 bytes/workgroup (compile time only)
; SGPRBlocks: 4
; VGPRBlocks: 6
; NumSGPRsForWavesPerEU: 36
; NumVGPRsForWavesPerEU: 51
; Occupancy: 16
; WaveLimiterHint : 1
; COMPUTE_PGM_RSRC2:SCRATCH_EN: 1
; COMPUTE_PGM_RSRC2:USER_SGPR: 15
; COMPUTE_PGM_RSRC2:TRAP_HANDLER: 0
; COMPUTE_PGM_RSRC2:TGID_X_EN: 1
; COMPUTE_PGM_RSRC2:TGID_Y_EN: 0
; COMPUTE_PGM_RSRC2:TGID_Z_EN: 0
; COMPUTE_PGM_RSRC2:TIDIG_COMP_CNT: 0
	.section	.text._ZN4vllm17activation_kernelIN3c104HalfETnPFT_RKS3_EXadL_ZNS_16gelu_fast_kernelIS2_EES3_S5_EELb1ELb1EEEvPS3_PS4_i,"axG",@progbits,_ZN4vllm17activation_kernelIN3c104HalfETnPFT_RKS3_EXadL_ZNS_16gelu_fast_kernelIS2_EES3_S5_EELb1ELb1EEEvPS3_PS4_i,comdat
	.protected	_ZN4vllm17activation_kernelIN3c104HalfETnPFT_RKS3_EXadL_ZNS_16gelu_fast_kernelIS2_EES3_S5_EELb1ELb1EEEvPS3_PS4_i ; -- Begin function _ZN4vllm17activation_kernelIN3c104HalfETnPFT_RKS3_EXadL_ZNS_16gelu_fast_kernelIS2_EES3_S5_EELb1ELb1EEEvPS3_PS4_i
	.globl	_ZN4vllm17activation_kernelIN3c104HalfETnPFT_RKS3_EXadL_ZNS_16gelu_fast_kernelIS2_EES3_S5_EELb1ELb1EEEvPS3_PS4_i
	.p2align	8
	.type	_ZN4vllm17activation_kernelIN3c104HalfETnPFT_RKS3_EXadL_ZNS_16gelu_fast_kernelIS2_EES3_S5_EELb1ELb1EEEvPS3_PS4_i,@function
_ZN4vllm17activation_kernelIN3c104HalfETnPFT_RKS3_EXadL_ZNS_16gelu_fast_kernelIS2_EES3_S5_EELb1ELb1EEEvPS3_PS4_i: ; @_ZN4vllm17activation_kernelIN3c104HalfETnPFT_RKS3_EXadL_ZNS_16gelu_fast_kernelIS2_EES3_S5_EELb1ELb1EEEvPS3_PS4_i
; %bb.0:
	s_load_b32 s2, s[0:1], 0x10
	s_mov_b32 s32, 0
	s_waitcnt lgkmcnt(0)
	s_ashr_i32 s3, s2, 31
	s_delay_alu instid0(SALU_CYCLE_1) | instskip(NEXT) | instid1(SALU_CYCLE_1)
	s_lshr_b32 s3, s3, 28
	s_add_i32 s2, s2, s3
	s_delay_alu instid0(SALU_CYCLE_1) | instskip(NEXT) | instid1(SALU_CYCLE_1)
	s_ashr_i32 s2, s2, 4
	v_cmp_gt_i32_e32 vcc_lo, s2, v0
	s_and_saveexec_b32 s2, vcc_lo
	s_cbranch_execz .LBB69_2
; %bb.1:
	s_add_u32 s8, s0, 24
	s_addc_u32 s9, s1, 0
	s_getpc_b64 s[0:1]
	s_add_u32 s0, s0, .str@rel32@lo+4
	s_addc_u32 s1, s1, .str@rel32@hi+12
	s_getpc_b64 s[2:3]
	s_add_u32 s2, s2, __PRETTY_FUNCTION__._ZN4vllm5ld256ERNS_7u32x8_tEPKS0_@rel32@lo+4
	s_addc_u32 s3, s3, __PRETTY_FUNCTION__._ZN4vllm5ld256ERNS_7u32x8_tEPKS0_@rel32@hi+12
	v_dual_mov_b32 v0, s0 :: v_dual_mov_b32 v1, s1
	v_dual_mov_b32 v2, 0x93 :: v_dual_mov_b32 v3, s2
	v_mov_b32_e32 v4, s3
	s_getpc_b64 s[4:5]
	s_add_u32 s4, s4, __assert_fail@rel32@lo+4
	s_addc_u32 s5, s5, __assert_fail@rel32@hi+12
	s_delay_alu instid0(SALU_CYCLE_1)
	s_swappc_b64 s[30:31], s[4:5]
	; divergent unreachable
.LBB69_2:
	s_endpgm
	.section	.rodata,"a",@progbits
	.p2align	6, 0x0
	.amdhsa_kernel _ZN4vllm17activation_kernelIN3c104HalfETnPFT_RKS3_EXadL_ZNS_16gelu_fast_kernelIS2_EES3_S5_EELb1ELb1EEEvPS3_PS4_i
		.amdhsa_group_segment_fixed_size 0
		.amdhsa_private_segment_fixed_size 64
		.amdhsa_kernarg_size 280
		.amdhsa_user_sgpr_count 15
		.amdhsa_user_sgpr_dispatch_ptr 0
		.amdhsa_user_sgpr_queue_ptr 0
		.amdhsa_user_sgpr_kernarg_segment_ptr 1
		.amdhsa_user_sgpr_dispatch_id 0
		.amdhsa_user_sgpr_private_segment_size 0
		.amdhsa_wavefront_size32 1
		.amdhsa_uses_dynamic_stack 0
		.amdhsa_enable_private_segment 1
		.amdhsa_system_sgpr_workgroup_id_x 1
		.amdhsa_system_sgpr_workgroup_id_y 0
		.amdhsa_system_sgpr_workgroup_id_z 0
		.amdhsa_system_sgpr_workgroup_info 0
		.amdhsa_system_vgpr_workitem_id 0
		.amdhsa_next_free_vgpr 51
		.amdhsa_next_free_sgpr 34
		.amdhsa_reserve_vcc 1
		.amdhsa_float_round_mode_32 0
		.amdhsa_float_round_mode_16_64 0
		.amdhsa_float_denorm_mode_32 3
		.amdhsa_float_denorm_mode_16_64 3
		.amdhsa_dx10_clamp 1
		.amdhsa_ieee_mode 1
		.amdhsa_fp16_overflow 0
		.amdhsa_workgroup_processor_mode 1
		.amdhsa_memory_ordered 1
		.amdhsa_forward_progress 0
		.amdhsa_shared_vgpr_count 0
		.amdhsa_exception_fp_ieee_invalid_op 0
		.amdhsa_exception_fp_denorm_src 0
		.amdhsa_exception_fp_ieee_div_zero 0
		.amdhsa_exception_fp_ieee_overflow 0
		.amdhsa_exception_fp_ieee_underflow 0
		.amdhsa_exception_fp_ieee_inexact 0
		.amdhsa_exception_int_div_zero 0
	.end_amdhsa_kernel
	.section	.text._ZN4vllm17activation_kernelIN3c104HalfETnPFT_RKS3_EXadL_ZNS_16gelu_fast_kernelIS2_EES3_S5_EELb1ELb1EEEvPS3_PS4_i,"axG",@progbits,_ZN4vllm17activation_kernelIN3c104HalfETnPFT_RKS3_EXadL_ZNS_16gelu_fast_kernelIS2_EES3_S5_EELb1ELb1EEEvPS3_PS4_i,comdat
.Lfunc_end69:
	.size	_ZN4vllm17activation_kernelIN3c104HalfETnPFT_RKS3_EXadL_ZNS_16gelu_fast_kernelIS2_EES3_S5_EELb1ELb1EEEvPS3_PS4_i, .Lfunc_end69-_ZN4vllm17activation_kernelIN3c104HalfETnPFT_RKS3_EXadL_ZNS_16gelu_fast_kernelIS2_EES3_S5_EELb1ELb1EEEvPS3_PS4_i
                                        ; -- End function
	.section	.AMDGPU.csdata,"",@progbits
; Kernel info:
; codeLenInByte = 156
; NumSgprs: 36
; NumVgprs: 51
; ScratchSize: 64
; MemoryBound: 0
; FloatMode: 240
; IeeeMode: 1
; LDSByteSize: 0 bytes/workgroup (compile time only)
; SGPRBlocks: 4
; VGPRBlocks: 6
; NumSGPRsForWavesPerEU: 36
; NumVGPRsForWavesPerEU: 51
; Occupancy: 16
; WaveLimiterHint : 1
; COMPUTE_PGM_RSRC2:SCRATCH_EN: 1
; COMPUTE_PGM_RSRC2:USER_SGPR: 15
; COMPUTE_PGM_RSRC2:TRAP_HANDLER: 0
; COMPUTE_PGM_RSRC2:TGID_X_EN: 1
; COMPUTE_PGM_RSRC2:TGID_Y_EN: 0
; COMPUTE_PGM_RSRC2:TGID_Z_EN: 0
; COMPUTE_PGM_RSRC2:TIDIG_COMP_CNT: 0
	.section	.text._ZN4vllm17activation_kernelIN3c108BFloat16ETnPFT_RKS3_EXadL_ZNS_16gelu_fast_kernelIS2_EES3_S5_EELb1ELb1EEEvPS3_PS4_i,"axG",@progbits,_ZN4vllm17activation_kernelIN3c108BFloat16ETnPFT_RKS3_EXadL_ZNS_16gelu_fast_kernelIS2_EES3_S5_EELb1ELb1EEEvPS3_PS4_i,comdat
	.protected	_ZN4vllm17activation_kernelIN3c108BFloat16ETnPFT_RKS3_EXadL_ZNS_16gelu_fast_kernelIS2_EES3_S5_EELb1ELb1EEEvPS3_PS4_i ; -- Begin function _ZN4vllm17activation_kernelIN3c108BFloat16ETnPFT_RKS3_EXadL_ZNS_16gelu_fast_kernelIS2_EES3_S5_EELb1ELb1EEEvPS3_PS4_i
	.globl	_ZN4vllm17activation_kernelIN3c108BFloat16ETnPFT_RKS3_EXadL_ZNS_16gelu_fast_kernelIS2_EES3_S5_EELb1ELb1EEEvPS3_PS4_i
	.p2align	8
	.type	_ZN4vllm17activation_kernelIN3c108BFloat16ETnPFT_RKS3_EXadL_ZNS_16gelu_fast_kernelIS2_EES3_S5_EELb1ELb1EEEvPS3_PS4_i,@function
_ZN4vllm17activation_kernelIN3c108BFloat16ETnPFT_RKS3_EXadL_ZNS_16gelu_fast_kernelIS2_EES3_S5_EELb1ELb1EEEvPS3_PS4_i: ; @_ZN4vllm17activation_kernelIN3c108BFloat16ETnPFT_RKS3_EXadL_ZNS_16gelu_fast_kernelIS2_EES3_S5_EELb1ELb1EEEvPS3_PS4_i
; %bb.0:
	s_load_b32 s2, s[0:1], 0x10
	s_mov_b32 s32, 0
	s_waitcnt lgkmcnt(0)
	s_ashr_i32 s3, s2, 31
	s_delay_alu instid0(SALU_CYCLE_1) | instskip(NEXT) | instid1(SALU_CYCLE_1)
	s_lshr_b32 s3, s3, 28
	s_add_i32 s2, s2, s3
	s_delay_alu instid0(SALU_CYCLE_1) | instskip(NEXT) | instid1(SALU_CYCLE_1)
	s_ashr_i32 s2, s2, 4
	v_cmp_gt_i32_e32 vcc_lo, s2, v0
	s_and_saveexec_b32 s2, vcc_lo
	s_cbranch_execz .LBB70_2
; %bb.1:
	s_add_u32 s8, s0, 24
	s_addc_u32 s9, s1, 0
	s_getpc_b64 s[0:1]
	s_add_u32 s0, s0, .str@rel32@lo+4
	s_addc_u32 s1, s1, .str@rel32@hi+12
	s_getpc_b64 s[2:3]
	s_add_u32 s2, s2, __PRETTY_FUNCTION__._ZN4vllm5ld256ERNS_7u32x8_tEPKS0_@rel32@lo+4
	s_addc_u32 s3, s3, __PRETTY_FUNCTION__._ZN4vllm5ld256ERNS_7u32x8_tEPKS0_@rel32@hi+12
	v_dual_mov_b32 v0, s0 :: v_dual_mov_b32 v1, s1
	v_dual_mov_b32 v2, 0x93 :: v_dual_mov_b32 v3, s2
	v_mov_b32_e32 v4, s3
	s_getpc_b64 s[4:5]
	s_add_u32 s4, s4, __assert_fail@rel32@lo+4
	s_addc_u32 s5, s5, __assert_fail@rel32@hi+12
	s_delay_alu instid0(SALU_CYCLE_1)
	s_swappc_b64 s[30:31], s[4:5]
	; divergent unreachable
.LBB70_2:
	s_endpgm
	.section	.rodata,"a",@progbits
	.p2align	6, 0x0
	.amdhsa_kernel _ZN4vllm17activation_kernelIN3c108BFloat16ETnPFT_RKS3_EXadL_ZNS_16gelu_fast_kernelIS2_EES3_S5_EELb1ELb1EEEvPS3_PS4_i
		.amdhsa_group_segment_fixed_size 0
		.amdhsa_private_segment_fixed_size 64
		.amdhsa_kernarg_size 280
		.amdhsa_user_sgpr_count 15
		.amdhsa_user_sgpr_dispatch_ptr 0
		.amdhsa_user_sgpr_queue_ptr 0
		.amdhsa_user_sgpr_kernarg_segment_ptr 1
		.amdhsa_user_sgpr_dispatch_id 0
		.amdhsa_user_sgpr_private_segment_size 0
		.amdhsa_wavefront_size32 1
		.amdhsa_uses_dynamic_stack 0
		.amdhsa_enable_private_segment 1
		.amdhsa_system_sgpr_workgroup_id_x 1
		.amdhsa_system_sgpr_workgroup_id_y 0
		.amdhsa_system_sgpr_workgroup_id_z 0
		.amdhsa_system_sgpr_workgroup_info 0
		.amdhsa_system_vgpr_workitem_id 0
		.amdhsa_next_free_vgpr 51
		.amdhsa_next_free_sgpr 34
		.amdhsa_reserve_vcc 1
		.amdhsa_float_round_mode_32 0
		.amdhsa_float_round_mode_16_64 0
		.amdhsa_float_denorm_mode_32 3
		.amdhsa_float_denorm_mode_16_64 3
		.amdhsa_dx10_clamp 1
		.amdhsa_ieee_mode 1
		.amdhsa_fp16_overflow 0
		.amdhsa_workgroup_processor_mode 1
		.amdhsa_memory_ordered 1
		.amdhsa_forward_progress 0
		.amdhsa_shared_vgpr_count 0
		.amdhsa_exception_fp_ieee_invalid_op 0
		.amdhsa_exception_fp_denorm_src 0
		.amdhsa_exception_fp_ieee_div_zero 0
		.amdhsa_exception_fp_ieee_overflow 0
		.amdhsa_exception_fp_ieee_underflow 0
		.amdhsa_exception_fp_ieee_inexact 0
		.amdhsa_exception_int_div_zero 0
	.end_amdhsa_kernel
	.section	.text._ZN4vllm17activation_kernelIN3c108BFloat16ETnPFT_RKS3_EXadL_ZNS_16gelu_fast_kernelIS2_EES3_S5_EELb1ELb1EEEvPS3_PS4_i,"axG",@progbits,_ZN4vllm17activation_kernelIN3c108BFloat16ETnPFT_RKS3_EXadL_ZNS_16gelu_fast_kernelIS2_EES3_S5_EELb1ELb1EEEvPS3_PS4_i,comdat
.Lfunc_end70:
	.size	_ZN4vllm17activation_kernelIN3c108BFloat16ETnPFT_RKS3_EXadL_ZNS_16gelu_fast_kernelIS2_EES3_S5_EELb1ELb1EEEvPS3_PS4_i, .Lfunc_end70-_ZN4vllm17activation_kernelIN3c108BFloat16ETnPFT_RKS3_EXadL_ZNS_16gelu_fast_kernelIS2_EES3_S5_EELb1ELb1EEEvPS3_PS4_i
                                        ; -- End function
	.section	.AMDGPU.csdata,"",@progbits
; Kernel info:
; codeLenInByte = 156
; NumSgprs: 36
; NumVgprs: 51
; ScratchSize: 64
; MemoryBound: 0
; FloatMode: 240
; IeeeMode: 1
; LDSByteSize: 0 bytes/workgroup (compile time only)
; SGPRBlocks: 4
; VGPRBlocks: 6
; NumSGPRsForWavesPerEU: 36
; NumVGPRsForWavesPerEU: 51
; Occupancy: 16
; WaveLimiterHint : 1
; COMPUTE_PGM_RSRC2:SCRATCH_EN: 1
; COMPUTE_PGM_RSRC2:USER_SGPR: 15
; COMPUTE_PGM_RSRC2:TRAP_HANDLER: 0
; COMPUTE_PGM_RSRC2:TGID_X_EN: 1
; COMPUTE_PGM_RSRC2:TGID_Y_EN: 0
; COMPUTE_PGM_RSRC2:TGID_Z_EN: 0
; COMPUTE_PGM_RSRC2:TIDIG_COMP_CNT: 0
	.section	.text._ZN4vllm17activation_kernelIfTnPFT_RKS1_EXadL_ZNS_16gelu_fast_kernelIfEES1_S3_EELb1ELb0EEEvPS1_PS2_i,"axG",@progbits,_ZN4vllm17activation_kernelIfTnPFT_RKS1_EXadL_ZNS_16gelu_fast_kernelIfEES1_S3_EELb1ELb0EEEvPS1_PS2_i,comdat
	.protected	_ZN4vllm17activation_kernelIfTnPFT_RKS1_EXadL_ZNS_16gelu_fast_kernelIfEES1_S3_EELb1ELb0EEEvPS1_PS2_i ; -- Begin function _ZN4vllm17activation_kernelIfTnPFT_RKS1_EXadL_ZNS_16gelu_fast_kernelIfEES1_S3_EELb1ELb0EEEvPS1_PS2_i
	.globl	_ZN4vllm17activation_kernelIfTnPFT_RKS1_EXadL_ZNS_16gelu_fast_kernelIfEES1_S3_EELb1ELb0EEEvPS1_PS2_i
	.p2align	8
	.type	_ZN4vllm17activation_kernelIfTnPFT_RKS1_EXadL_ZNS_16gelu_fast_kernelIfEES1_S3_EELb1ELb0EEEvPS1_PS2_i,@function
_ZN4vllm17activation_kernelIfTnPFT_RKS1_EXadL_ZNS_16gelu_fast_kernelIfEES1_S3_EELb1ELb0EEEvPS1_PS2_i: ; @_ZN4vllm17activation_kernelIfTnPFT_RKS1_EXadL_ZNS_16gelu_fast_kernelIfEES1_S3_EELb1ELb0EEEvPS1_PS2_i
; %bb.0:
	s_load_b32 s3, s[0:1], 0x10
	s_mov_b32 s4, exec_lo
	s_waitcnt lgkmcnt(0)
	s_ashr_i32 s2, s3, 31
	s_delay_alu instid0(SALU_CYCLE_1) | instskip(NEXT) | instid1(SALU_CYCLE_1)
	s_lshr_b32 s2, s2, 30
	s_add_i32 s2, s3, s2
	s_delay_alu instid0(SALU_CYCLE_1) | instskip(NEXT) | instid1(SALU_CYCLE_1)
	s_ashr_i32 s2, s2, 2
	v_cmpx_gt_i32_e64 s2, v0
	s_cbranch_execz .LBB71_19
; %bb.1:
	s_clause 0x1
	s_load_b32 s10, s[0:1], 0x24
	s_load_b128 s[4:7], s[0:1], 0x0
	v_lshlrev_b32_e32 v1, 4, v0
	s_mul_i32 s0, s15, s3
	s_mov_b32 s1, 0
	s_delay_alu instid0(SALU_CYCLE_1)
	s_lshl_b64 s[8:9], s[0:1], 2
	s_delay_alu instid0(VALU_DEP_1) | instid1(SALU_CYCLE_1)
	v_add_co_u32 v5, s0, v1, s8
	s_delay_alu instid0(VALU_DEP_1) | instskip(SKIP_3) | instid1(SALU_CYCLE_1)
	v_add_co_ci_u32_e64 v6, null, 0, s9, s0
	s_mov_b32 s9, 0xbbbac73d
	s_waitcnt lgkmcnt(0)
	s_and_b32 s3, s10, 0xffff
	s_lshl_b32 s8, s3, 4
	s_branch .LBB71_3
.LBB71_2:                               ;   in Loop: Header=BB71_3 Depth=1
	s_or_b32 exec_lo, exec_lo, s0
	v_bfi_b32 v7, 0x7fffffff, v8, v7
	v_bfi_b32 v11, 0x7fffffff, v12, v11
	;; [unrolled: 1-line block ×3, first 2 shown]
	s_waitcnt_depctr 0xfff
	v_bfi_b32 v10, 0x7fffffff, v14, v13
	v_dual_mul_f32 v1, 0.5, v1 :: v_dual_mul_f32 v4, 0.5, v4
	v_add_f32_e32 v7, 1.0, v7
	v_dual_mul_f32 v3, 0.5, v3 :: v_dual_mul_f32 v2, 0.5, v2
	v_dual_add_f32 v8, 1.0, v11 :: v_dual_add_f32 v9, 1.0, v9
	v_add_nc_u32_e32 v0, s3, v0
	s_delay_alu instid0(VALU_DEP_4) | instskip(SKIP_1) | instid1(VALU_DEP_4)
	v_dual_add_f32 v10, 1.0, v10 :: v_dual_mul_f32 v1, v1, v7
	v_add_co_u32 v7, vcc_lo, s4, v5
	v_dual_mul_f32 v3, v3, v8 :: v_dual_mul_f32 v2, v2, v9
	v_add_co_ci_u32_e32 v8, vcc_lo, s5, v6, vcc_lo
	v_cmp_le_i32_e32 vcc_lo, s2, v0
	v_add_co_u32 v5, s0, v5, s8
	v_mul_f32_e32 v4, v4, v10
	v_add_co_ci_u32_e64 v6, s0, 0, v6, s0
	s_or_b32 s1, vcc_lo, s1
	global_store_b128 v[7:8], v[1:4], off
	s_and_not1_b32 exec_lo, exec_lo, s1
	s_cbranch_execz .LBB71_19
.LBB71_3:                               ; =>This Inner Loop Header: Depth=1
	v_add_co_u32 v1, vcc_lo, s6, v5
	v_add_co_ci_u32_e32 v2, vcc_lo, s7, v6, vcc_lo
	global_load_b128 v[1:4], v[1:2], off
	s_waitcnt vmcnt(0)
	v_mul_f32_e32 v7, 0x3d372713, v1
	v_mul_f32_e32 v8, 0x3f4c422a, v1
	s_delay_alu instid0(VALU_DEP_2) | instskip(NEXT) | instid1(VALU_DEP_1)
	v_fma_f32 v7, v1, v7, 1.0
	v_mul_f32_e32 v7, v8, v7
                                        ; implicit-def: $vgpr8
	s_delay_alu instid0(VALU_DEP_1) | instskip(NEXT) | instid1(VALU_DEP_1)
	v_cmp_ngt_f32_e64 s0, 0x3f200000, |v7|
	s_and_saveexec_b32 s10, s0
	s_delay_alu instid0(SALU_CYCLE_1)
	s_xor_b32 s0, exec_lo, s10
	s_cbranch_execz .LBB71_5
; %bb.4:                                ;   in Loop: Header=BB71_3 Depth=1
	v_add_f32_e64 v8, |v7|, |v7|
	s_delay_alu instid0(VALU_DEP_1) | instskip(SKIP_1) | instid1(VALU_DEP_2)
	v_mul_f32_e32 v9, 0x3fb8aa3b, v8
	v_cmp_ngt_f32_e32 vcc_lo, 0xc2ce8ed0, v8
	v_rndne_f32_e32 v10, v9
	v_fma_f32 v11, 0x3fb8aa3b, v8, -v9
	s_delay_alu instid0(VALU_DEP_2) | instskip(NEXT) | instid1(VALU_DEP_2)
	v_sub_f32_e32 v9, v9, v10
	v_fmac_f32_e32 v11, 0x32a5705f, v8
	v_cvt_i32_f32_e32 v10, v10
	s_delay_alu instid0(VALU_DEP_2) | instskip(NEXT) | instid1(VALU_DEP_1)
	v_add_f32_e32 v9, v9, v11
	v_exp_f32_e32 v9, v9
	s_waitcnt_depctr 0xfff
	v_ldexp_f32 v9, v9, v10
	s_delay_alu instid0(VALU_DEP_1) | instskip(SKIP_1) | instid1(VALU_DEP_2)
	v_cndmask_b32_e32 v9, 0, v9, vcc_lo
	v_cmp_nlt_f32_e32 vcc_lo, 0x42b17218, v8
	v_cndmask_b32_e32 v8, 0x7f800000, v9, vcc_lo
	s_delay_alu instid0(VALU_DEP_1) | instskip(NEXT) | instid1(VALU_DEP_1)
	v_add_f32_e32 v8, 1.0, v8
	v_rcp_f32_e32 v8, v8
	s_waitcnt_depctr 0xfff
	v_fma_f32 v8, v8, -2.0, 1.0
.LBB71_5:                               ;   in Loop: Header=BB71_3 Depth=1
	s_and_not1_saveexec_b32 s0, s0
; %bb.6:                                ;   in Loop: Header=BB71_3 Depth=1
	v_mul_f32_e32 v8, v7, v7
	s_delay_alu instid0(VALU_DEP_1) | instskip(NEXT) | instid1(VALU_DEP_1)
	v_fmaak_f32 v9, s9, v8, 0x3ca908c9
	v_fmaak_f32 v9, v8, v9, 0xbd5c1c4e
	s_delay_alu instid0(VALU_DEP_1) | instskip(NEXT) | instid1(VALU_DEP_1)
	v_fmaak_f32 v9, v8, v9, 0x3e088382
	v_fmaak_f32 v9, v8, v9, 0xbeaaaa99
	s_delay_alu instid0(VALU_DEP_1) | instskip(NEXT) | instid1(VALU_DEP_1)
	v_mul_f32_e64 v9, |v7|, v9
	v_fma_f32 v8, v8, v9, |v7|
; %bb.7:                                ;   in Loop: Header=BB71_3 Depth=1
	s_or_b32 exec_lo, exec_lo, s0
	v_mul_f32_e32 v9, 0x3d372713, v2
	v_mul_f32_e32 v10, 0x3f4c422a, v2
	s_delay_alu instid0(VALU_DEP_2) | instskip(NEXT) | instid1(VALU_DEP_1)
	v_fma_f32 v9, v2, v9, 1.0
	v_mul_f32_e32 v9, v10, v9
                                        ; implicit-def: $vgpr10
	s_delay_alu instid0(VALU_DEP_1) | instskip(NEXT) | instid1(VALU_DEP_1)
	v_cmp_ngt_f32_e64 s0, 0x3f200000, |v9|
	s_and_saveexec_b32 s10, s0
	s_delay_alu instid0(SALU_CYCLE_1)
	s_xor_b32 s0, exec_lo, s10
	s_cbranch_execz .LBB71_9
; %bb.8:                                ;   in Loop: Header=BB71_3 Depth=1
	v_add_f32_e64 v10, |v9|, |v9|
	s_delay_alu instid0(VALU_DEP_1) | instskip(SKIP_1) | instid1(VALU_DEP_2)
	v_mul_f32_e32 v11, 0x3fb8aa3b, v10
	v_cmp_ngt_f32_e32 vcc_lo, 0xc2ce8ed0, v10
	v_rndne_f32_e32 v12, v11
	v_fma_f32 v13, 0x3fb8aa3b, v10, -v11
	s_delay_alu instid0(VALU_DEP_2) | instskip(NEXT) | instid1(VALU_DEP_2)
	v_sub_f32_e32 v11, v11, v12
	v_fmac_f32_e32 v13, 0x32a5705f, v10
	v_cvt_i32_f32_e32 v12, v12
	s_delay_alu instid0(VALU_DEP_2) | instskip(NEXT) | instid1(VALU_DEP_1)
	v_add_f32_e32 v11, v11, v13
	v_exp_f32_e32 v11, v11
	s_waitcnt_depctr 0xfff
	v_ldexp_f32 v11, v11, v12
	s_delay_alu instid0(VALU_DEP_1) | instskip(SKIP_1) | instid1(VALU_DEP_2)
	v_cndmask_b32_e32 v11, 0, v11, vcc_lo
	v_cmp_nlt_f32_e32 vcc_lo, 0x42b17218, v10
	v_cndmask_b32_e32 v10, 0x7f800000, v11, vcc_lo
	s_delay_alu instid0(VALU_DEP_1) | instskip(NEXT) | instid1(VALU_DEP_1)
	v_add_f32_e32 v10, 1.0, v10
	v_rcp_f32_e32 v10, v10
	s_waitcnt_depctr 0xfff
	v_fma_f32 v10, v10, -2.0, 1.0
.LBB71_9:                               ;   in Loop: Header=BB71_3 Depth=1
	s_and_not1_saveexec_b32 s0, s0
; %bb.10:                               ;   in Loop: Header=BB71_3 Depth=1
	v_mul_f32_e32 v10, v9, v9
	s_delay_alu instid0(VALU_DEP_1) | instskip(NEXT) | instid1(VALU_DEP_1)
	v_fmaak_f32 v11, s9, v10, 0x3ca908c9
	v_fmaak_f32 v11, v10, v11, 0xbd5c1c4e
	s_delay_alu instid0(VALU_DEP_1) | instskip(NEXT) | instid1(VALU_DEP_1)
	v_fmaak_f32 v11, v10, v11, 0x3e088382
	v_fmaak_f32 v11, v10, v11, 0xbeaaaa99
	s_delay_alu instid0(VALU_DEP_1) | instskip(NEXT) | instid1(VALU_DEP_1)
	v_mul_f32_e64 v11, |v9|, v11
	v_fma_f32 v10, v10, v11, |v9|
; %bb.11:                               ;   in Loop: Header=BB71_3 Depth=1
	s_or_b32 exec_lo, exec_lo, s0
	v_mul_f32_e32 v11, 0x3d372713, v3
	v_mul_f32_e32 v12, 0x3f4c422a, v3
	s_delay_alu instid0(VALU_DEP_2) | instskip(NEXT) | instid1(VALU_DEP_1)
	v_fma_f32 v11, v3, v11, 1.0
	v_mul_f32_e32 v11, v12, v11
                                        ; implicit-def: $vgpr12
	s_delay_alu instid0(VALU_DEP_1) | instskip(NEXT) | instid1(VALU_DEP_1)
	v_cmp_ngt_f32_e64 s0, 0x3f200000, |v11|
	s_and_saveexec_b32 s10, s0
	s_delay_alu instid0(SALU_CYCLE_1)
	s_xor_b32 s0, exec_lo, s10
	s_cbranch_execz .LBB71_13
; %bb.12:                               ;   in Loop: Header=BB71_3 Depth=1
	v_add_f32_e64 v12, |v11|, |v11|
	s_delay_alu instid0(VALU_DEP_1) | instskip(SKIP_1) | instid1(VALU_DEP_2)
	v_mul_f32_e32 v13, 0x3fb8aa3b, v12
	v_cmp_ngt_f32_e32 vcc_lo, 0xc2ce8ed0, v12
	v_rndne_f32_e32 v14, v13
	v_fma_f32 v15, 0x3fb8aa3b, v12, -v13
	s_delay_alu instid0(VALU_DEP_2) | instskip(NEXT) | instid1(VALU_DEP_2)
	v_sub_f32_e32 v13, v13, v14
	v_fmac_f32_e32 v15, 0x32a5705f, v12
	v_cvt_i32_f32_e32 v14, v14
	s_delay_alu instid0(VALU_DEP_2) | instskip(NEXT) | instid1(VALU_DEP_1)
	v_add_f32_e32 v13, v13, v15
	v_exp_f32_e32 v13, v13
	s_waitcnt_depctr 0xfff
	v_ldexp_f32 v13, v13, v14
	s_delay_alu instid0(VALU_DEP_1) | instskip(SKIP_1) | instid1(VALU_DEP_2)
	v_cndmask_b32_e32 v13, 0, v13, vcc_lo
	v_cmp_nlt_f32_e32 vcc_lo, 0x42b17218, v12
	v_cndmask_b32_e32 v12, 0x7f800000, v13, vcc_lo
	s_delay_alu instid0(VALU_DEP_1) | instskip(NEXT) | instid1(VALU_DEP_1)
	v_add_f32_e32 v12, 1.0, v12
	v_rcp_f32_e32 v12, v12
	s_waitcnt_depctr 0xfff
	v_fma_f32 v12, v12, -2.0, 1.0
.LBB71_13:                              ;   in Loop: Header=BB71_3 Depth=1
	s_and_not1_saveexec_b32 s0, s0
; %bb.14:                               ;   in Loop: Header=BB71_3 Depth=1
	v_mul_f32_e32 v12, v11, v11
	s_delay_alu instid0(VALU_DEP_1) | instskip(NEXT) | instid1(VALU_DEP_1)
	v_fmaak_f32 v13, s9, v12, 0x3ca908c9
	v_fmaak_f32 v13, v12, v13, 0xbd5c1c4e
	s_delay_alu instid0(VALU_DEP_1) | instskip(NEXT) | instid1(VALU_DEP_1)
	v_fmaak_f32 v13, v12, v13, 0x3e088382
	v_fmaak_f32 v13, v12, v13, 0xbeaaaa99
	s_delay_alu instid0(VALU_DEP_1) | instskip(NEXT) | instid1(VALU_DEP_1)
	v_mul_f32_e64 v13, |v11|, v13
	v_fma_f32 v12, v12, v13, |v11|
; %bb.15:                               ;   in Loop: Header=BB71_3 Depth=1
	s_or_b32 exec_lo, exec_lo, s0
	v_mul_f32_e32 v13, 0x3d372713, v4
	v_mul_f32_e32 v14, 0x3f4c422a, v4
	s_delay_alu instid0(VALU_DEP_2) | instskip(NEXT) | instid1(VALU_DEP_1)
	v_fma_f32 v13, v4, v13, 1.0
	v_mul_f32_e32 v13, v14, v13
                                        ; implicit-def: $vgpr14
	s_delay_alu instid0(VALU_DEP_1) | instskip(NEXT) | instid1(VALU_DEP_1)
	v_cmp_ngt_f32_e64 s0, 0x3f200000, |v13|
	s_and_saveexec_b32 s10, s0
	s_delay_alu instid0(SALU_CYCLE_1)
	s_xor_b32 s0, exec_lo, s10
	s_cbranch_execz .LBB71_17
; %bb.16:                               ;   in Loop: Header=BB71_3 Depth=1
	v_add_f32_e64 v14, |v13|, |v13|
	s_delay_alu instid0(VALU_DEP_1) | instskip(SKIP_1) | instid1(VALU_DEP_2)
	v_mul_f32_e32 v15, 0x3fb8aa3b, v14
	v_cmp_ngt_f32_e32 vcc_lo, 0xc2ce8ed0, v14
	v_rndne_f32_e32 v16, v15
	v_fma_f32 v17, 0x3fb8aa3b, v14, -v15
	s_delay_alu instid0(VALU_DEP_2) | instskip(NEXT) | instid1(VALU_DEP_2)
	v_sub_f32_e32 v15, v15, v16
	v_fmac_f32_e32 v17, 0x32a5705f, v14
	v_cvt_i32_f32_e32 v16, v16
	s_delay_alu instid0(VALU_DEP_2) | instskip(NEXT) | instid1(VALU_DEP_1)
	v_add_f32_e32 v15, v15, v17
	v_exp_f32_e32 v15, v15
	s_waitcnt_depctr 0xfff
	v_ldexp_f32 v15, v15, v16
	s_delay_alu instid0(VALU_DEP_1) | instskip(SKIP_1) | instid1(VALU_DEP_2)
	v_cndmask_b32_e32 v15, 0, v15, vcc_lo
	v_cmp_nlt_f32_e32 vcc_lo, 0x42b17218, v14
	v_cndmask_b32_e32 v14, 0x7f800000, v15, vcc_lo
	s_delay_alu instid0(VALU_DEP_1) | instskip(NEXT) | instid1(VALU_DEP_1)
	v_add_f32_e32 v14, 1.0, v14
	v_rcp_f32_e32 v14, v14
	s_waitcnt_depctr 0xfff
	v_fma_f32 v14, v14, -2.0, 1.0
.LBB71_17:                              ;   in Loop: Header=BB71_3 Depth=1
	s_and_not1_saveexec_b32 s0, s0
	s_cbranch_execz .LBB71_2
; %bb.18:                               ;   in Loop: Header=BB71_3 Depth=1
	v_mul_f32_e32 v14, v13, v13
	s_delay_alu instid0(VALU_DEP_1) | instskip(NEXT) | instid1(VALU_DEP_1)
	v_fmaak_f32 v15, s9, v14, 0x3ca908c9
	v_fmaak_f32 v15, v14, v15, 0xbd5c1c4e
	s_delay_alu instid0(VALU_DEP_1) | instskip(NEXT) | instid1(VALU_DEP_1)
	v_fmaak_f32 v15, v14, v15, 0x3e088382
	v_fmaak_f32 v15, v14, v15, 0xbeaaaa99
	s_delay_alu instid0(VALU_DEP_1) | instskip(NEXT) | instid1(VALU_DEP_1)
	v_mul_f32_e64 v15, |v13|, v15
	v_fma_f32 v14, v14, v15, |v13|
	s_branch .LBB71_2
.LBB71_19:
	s_nop 0
	s_sendmsg sendmsg(MSG_DEALLOC_VGPRS)
	s_endpgm
	.section	.rodata,"a",@progbits
	.p2align	6, 0x0
	.amdhsa_kernel _ZN4vllm17activation_kernelIfTnPFT_RKS1_EXadL_ZNS_16gelu_fast_kernelIfEES1_S3_EELb1ELb0EEEvPS1_PS2_i
		.amdhsa_group_segment_fixed_size 0
		.amdhsa_private_segment_fixed_size 0
		.amdhsa_kernarg_size 280
		.amdhsa_user_sgpr_count 15
		.amdhsa_user_sgpr_dispatch_ptr 0
		.amdhsa_user_sgpr_queue_ptr 0
		.amdhsa_user_sgpr_kernarg_segment_ptr 1
		.amdhsa_user_sgpr_dispatch_id 0
		.amdhsa_user_sgpr_private_segment_size 0
		.amdhsa_wavefront_size32 1
		.amdhsa_uses_dynamic_stack 0
		.amdhsa_enable_private_segment 0
		.amdhsa_system_sgpr_workgroup_id_x 1
		.amdhsa_system_sgpr_workgroup_id_y 0
		.amdhsa_system_sgpr_workgroup_id_z 0
		.amdhsa_system_sgpr_workgroup_info 0
		.amdhsa_system_vgpr_workitem_id 0
		.amdhsa_next_free_vgpr 18
		.amdhsa_next_free_sgpr 16
		.amdhsa_reserve_vcc 1
		.amdhsa_float_round_mode_32 0
		.amdhsa_float_round_mode_16_64 0
		.amdhsa_float_denorm_mode_32 3
		.amdhsa_float_denorm_mode_16_64 3
		.amdhsa_dx10_clamp 1
		.amdhsa_ieee_mode 1
		.amdhsa_fp16_overflow 0
		.amdhsa_workgroup_processor_mode 1
		.amdhsa_memory_ordered 1
		.amdhsa_forward_progress 0
		.amdhsa_shared_vgpr_count 0
		.amdhsa_exception_fp_ieee_invalid_op 0
		.amdhsa_exception_fp_denorm_src 0
		.amdhsa_exception_fp_ieee_div_zero 0
		.amdhsa_exception_fp_ieee_overflow 0
		.amdhsa_exception_fp_ieee_underflow 0
		.amdhsa_exception_fp_ieee_inexact 0
		.amdhsa_exception_int_div_zero 0
	.end_amdhsa_kernel
	.section	.text._ZN4vllm17activation_kernelIfTnPFT_RKS1_EXadL_ZNS_16gelu_fast_kernelIfEES1_S3_EELb1ELb0EEEvPS1_PS2_i,"axG",@progbits,_ZN4vllm17activation_kernelIfTnPFT_RKS1_EXadL_ZNS_16gelu_fast_kernelIfEES1_S3_EELb1ELb0EEEvPS1_PS2_i,comdat
.Lfunc_end71:
	.size	_ZN4vllm17activation_kernelIfTnPFT_RKS1_EXadL_ZNS_16gelu_fast_kernelIfEES1_S3_EELb1ELb0EEEvPS1_PS2_i, .Lfunc_end71-_ZN4vllm17activation_kernelIfTnPFT_RKS1_EXadL_ZNS_16gelu_fast_kernelIfEES1_S3_EELb1ELb0EEEvPS1_PS2_i
                                        ; -- End function
	.section	.AMDGPU.csdata,"",@progbits
; Kernel info:
; codeLenInByte = 1436
; NumSgprs: 18
; NumVgprs: 18
; ScratchSize: 0
; MemoryBound: 0
; FloatMode: 240
; IeeeMode: 1
; LDSByteSize: 0 bytes/workgroup (compile time only)
; SGPRBlocks: 2
; VGPRBlocks: 2
; NumSGPRsForWavesPerEU: 18
; NumVGPRsForWavesPerEU: 18
; Occupancy: 16
; WaveLimiterHint : 0
; COMPUTE_PGM_RSRC2:SCRATCH_EN: 0
; COMPUTE_PGM_RSRC2:USER_SGPR: 15
; COMPUTE_PGM_RSRC2:TRAP_HANDLER: 0
; COMPUTE_PGM_RSRC2:TGID_X_EN: 1
; COMPUTE_PGM_RSRC2:TGID_Y_EN: 0
; COMPUTE_PGM_RSRC2:TGID_Z_EN: 0
; COMPUTE_PGM_RSRC2:TIDIG_COMP_CNT: 0
	.section	.text._ZN4vllm17activation_kernelIN3c104HalfETnPFT_RKS3_EXadL_ZNS_16gelu_fast_kernelIS2_EES3_S5_EELb1ELb0EEEvPS3_PS4_i,"axG",@progbits,_ZN4vllm17activation_kernelIN3c104HalfETnPFT_RKS3_EXadL_ZNS_16gelu_fast_kernelIS2_EES3_S5_EELb1ELb0EEEvPS3_PS4_i,comdat
	.protected	_ZN4vllm17activation_kernelIN3c104HalfETnPFT_RKS3_EXadL_ZNS_16gelu_fast_kernelIS2_EES3_S5_EELb1ELb0EEEvPS3_PS4_i ; -- Begin function _ZN4vllm17activation_kernelIN3c104HalfETnPFT_RKS3_EXadL_ZNS_16gelu_fast_kernelIS2_EES3_S5_EELb1ELb0EEEvPS3_PS4_i
	.globl	_ZN4vllm17activation_kernelIN3c104HalfETnPFT_RKS3_EXadL_ZNS_16gelu_fast_kernelIS2_EES3_S5_EELb1ELb0EEEvPS3_PS4_i
	.p2align	8
	.type	_ZN4vllm17activation_kernelIN3c104HalfETnPFT_RKS3_EXadL_ZNS_16gelu_fast_kernelIS2_EES3_S5_EELb1ELb0EEEvPS3_PS4_i,@function
_ZN4vllm17activation_kernelIN3c104HalfETnPFT_RKS3_EXadL_ZNS_16gelu_fast_kernelIS2_EES3_S5_EELb1ELb0EEEvPS3_PS4_i: ; @_ZN4vllm17activation_kernelIN3c104HalfETnPFT_RKS3_EXadL_ZNS_16gelu_fast_kernelIS2_EES3_S5_EELb1ELb0EEEvPS3_PS4_i
; %bb.0:
	s_load_b32 s2, s[0:1], 0x10
	s_waitcnt lgkmcnt(0)
	s_ashr_i32 s3, s2, 31
	s_delay_alu instid0(SALU_CYCLE_1) | instskip(NEXT) | instid1(SALU_CYCLE_1)
	s_lshr_b32 s3, s3, 29
	s_add_i32 s3, s2, s3
	s_delay_alu instid0(SALU_CYCLE_1)
	s_ashr_i32 s4, s3, 3
	s_mov_b32 s3, exec_lo
	v_cmpx_gt_i32_e64 s4, v0
	s_cbranch_execz .LBB72_35
; %bb.1:
	s_clause 0x1
	s_load_b32 s6, s[0:1], 0x24
	s_load_b128 s[8:11], s[0:1], 0x0
	v_lshlrev_b32_e32 v1, 4, v0
	s_mul_i32 s0, s15, s2
	s_mov_b32 s1, 0
	s_mov_b32 s5, 0x3f4c422a
	s_lshl_b64 s[2:3], s[0:1], 1
	s_waitcnt lgkmcnt(0)
	s_and_b32 s6, s6, 0xffff
	v_add_co_u32 v5, s0, s8, v1
	s_delay_alu instid0(VALU_DEP_1) | instskip(SKIP_1) | instid1(VALU_DEP_1)
	v_add_co_ci_u32_e64 v6, null, s9, 0, s0
	v_add_co_u32 v7, s0, s10, v1
	v_add_co_ci_u32_e64 v8, null, s11, 0, s0
	s_lshl_b32 s7, s6, 4
	s_mov_b32 s8, 0x3d372713
	s_mov_b32 s9, 0xbbbac73d
	s_branch .LBB72_3
.LBB72_2:                               ;   in Loop: Header=BB72_3 Depth=1
	s_or_b32 exec_lo, exec_lo, s0
	v_cvt_f16_f32_e32 v20, v20
	v_lshrrev_b32_e32 v19, 16, v19
	v_mul_f16_e32 v3, 0.5, v3
	v_cvt_f16_f32_e32 v15, v15
	v_lshrrev_b32_e32 v14, 16, v14
	v_cvt_f16_f32_e32 v10, v10
	v_bfi_b32 v19, 0x7fff, v20, v19
	v_lshrrev_b32_e32 v9, 16, v9
	v_cvt_f16_f32_e32 v13, v13
	v_lshrrev_b32_e32 v12, 16, v12
	v_cvt_f16_f32_e32 v27, v27
	v_add_f16_e32 v19, 1.0, v19
	v_lshrrev_b32_e32 v25, 16, v25
	v_cvt_f16_f32_e32 v23, v23
	v_lshrrev_b32_e32 v22, 16, v22
	v_cvt_f16_f32_e32 v18, v18
	v_lshrrev_b32_e32 v17, 16, v17
	v_mul_f16_e32 v3, v3, v19
	v_bfi_b32 v14, 0x7fff, v15, v14
	v_cvt_f16_f32_e32 v15, v28
	v_lshrrev_b32_e32 v19, 16, v26
	v_bfi_b32 v9, 0x7fff, v10, v9
	v_bfi_b32 v12, 0x7fff, v13, v12
	;; [unrolled: 1-line block ×5, first 2 shown]
	v_mul_f16_e32 v10, 0.5, v11
	v_bfi_b32 v11, 0x7fff, v15, v19
	v_mul_f16_e32 v1, 0.5, v1
	v_add_f16_e32 v9, 1.0, v9
	v_add_f16_e32 v12, 1.0, v12
	v_mul_f16_e32 v4, 0.5, v4
	v_mul_f16_e32 v21, 0.5, v21
	v_add_f16_e32 v23, 1.0, v25
	v_add_f16_e32 v20, 1.0, v22
	v_mul_f16_e32 v16, 0.5, v16
	v_add_f16_e32 v17, 1.0, v17
	v_mul_f16_e32 v2, 0.5, v2
	;; [unrolled: 2-line block ×3, first 2 shown]
	v_add_f16_e32 v11, 1.0, v11
	v_mul_f16_e32 v1, v1, v9
	v_add_co_u32 v9, vcc_lo, v5, s2
	v_add_nc_u32_e32 v0, s6, v0
	v_mul_f16_e32 v12, v10, v12
	v_add_co_ci_u32_e32 v10, vcc_lo, s3, v6, vcc_lo
	v_mul_f16_e32 v4, v4, v23
	v_mul_f16_e32 v18, v21, v20
	;; [unrolled: 1-line block ×5, first 2 shown]
	v_add_co_u32 v5, vcc_lo, v5, s7
	v_add_co_ci_u32_e32 v6, vcc_lo, 0, v6, vcc_lo
	v_cmp_le_i32_e32 vcc_lo, s4, v0
	v_add_co_u32 v7, s0, v7, s7
	v_pack_b32_f16 v4, v4, v11
	v_pack_b32_f16 v3, v3, v18
	;; [unrolled: 1-line block ×4, first 2 shown]
	v_add_co_ci_u32_e64 v8, s0, 0, v8, s0
	s_or_b32 s1, vcc_lo, s1
	global_store_b128 v[9:10], v[1:4], off
	s_and_not1_b32 exec_lo, exec_lo, s1
	s_cbranch_execz .LBB72_35
.LBB72_3:                               ; =>This Inner Loop Header: Depth=1
	v_add_co_u32 v1, vcc_lo, v7, s2
	v_add_co_ci_u32_e32 v2, vcc_lo, s3, v8, vcc_lo
	global_load_b128 v[1:4], v[1:2], off
	s_waitcnt vmcnt(0)
	v_fma_mixlo_f16 v9, v1, s8, 0 op_sel_hi:[1,0,0]
	v_fma_mixlo_f16 v10, v1, s5, 0 op_sel_hi:[1,0,0]
	s_delay_alu instid0(VALU_DEP_2) | instskip(NEXT) | instid1(VALU_DEP_1)
	v_fma_f16 v9, v1, v9, 1.0
	v_mul_f16_e32 v9, v9, v10
                                        ; implicit-def: $vgpr10
	s_delay_alu instid0(VALU_DEP_1) | instskip(NEXT) | instid1(VALU_DEP_1)
	v_cvt_f32_f16_e32 v9, v9
	v_cmp_ngt_f32_e64 s0, 0x3f200000, |v9|
	s_delay_alu instid0(VALU_DEP_1) | instskip(NEXT) | instid1(SALU_CYCLE_1)
	s_and_saveexec_b32 s10, s0
	s_xor_b32 s0, exec_lo, s10
	s_cbranch_execz .LBB72_5
; %bb.4:                                ;   in Loop: Header=BB72_3 Depth=1
	v_add_f32_e64 v10, |v9|, |v9|
	s_delay_alu instid0(VALU_DEP_1) | instskip(SKIP_1) | instid1(VALU_DEP_2)
	v_mul_f32_e32 v11, 0x3fb8aa3b, v10
	v_cmp_ngt_f32_e32 vcc_lo, 0xc2ce8ed0, v10
	v_rndne_f32_e32 v12, v11
	v_fma_f32 v13, 0x3fb8aa3b, v10, -v11
	s_delay_alu instid0(VALU_DEP_2) | instskip(NEXT) | instid1(VALU_DEP_2)
	v_sub_f32_e32 v11, v11, v12
	v_fmac_f32_e32 v13, 0x32a5705f, v10
	v_cvt_i32_f32_e32 v12, v12
	s_delay_alu instid0(VALU_DEP_2) | instskip(NEXT) | instid1(VALU_DEP_1)
	v_add_f32_e32 v11, v11, v13
	v_exp_f32_e32 v11, v11
	s_waitcnt_depctr 0xfff
	v_ldexp_f32 v11, v11, v12
	s_delay_alu instid0(VALU_DEP_1) | instskip(SKIP_1) | instid1(VALU_DEP_2)
	v_cndmask_b32_e32 v11, 0, v11, vcc_lo
	v_cmp_nlt_f32_e32 vcc_lo, 0x42b17218, v10
	v_cndmask_b32_e32 v10, 0x7f800000, v11, vcc_lo
	s_delay_alu instid0(VALU_DEP_1) | instskip(NEXT) | instid1(VALU_DEP_1)
	v_add_f32_e32 v10, 1.0, v10
	v_rcp_f32_e32 v10, v10
	s_waitcnt_depctr 0xfff
	v_fma_f32 v10, v10, -2.0, 1.0
.LBB72_5:                               ;   in Loop: Header=BB72_3 Depth=1
	s_and_not1_saveexec_b32 s0, s0
; %bb.6:                                ;   in Loop: Header=BB72_3 Depth=1
	v_mul_f32_e32 v10, v9, v9
	s_delay_alu instid0(VALU_DEP_1) | instskip(NEXT) | instid1(VALU_DEP_1)
	v_fmaak_f32 v11, s9, v10, 0x3ca908c9
	v_fmaak_f32 v11, v10, v11, 0xbd5c1c4e
	s_delay_alu instid0(VALU_DEP_1) | instskip(NEXT) | instid1(VALU_DEP_1)
	v_fmaak_f32 v11, v10, v11, 0x3e088382
	v_fmaak_f32 v11, v10, v11, 0xbeaaaa99
	s_delay_alu instid0(VALU_DEP_1) | instskip(NEXT) | instid1(VALU_DEP_1)
	v_mul_f32_e64 v11, |v9|, v11
	v_fma_f32 v10, v10, v11, |v9|
; %bb.7:                                ;   in Loop: Header=BB72_3 Depth=1
	s_or_b32 exec_lo, exec_lo, s0
	v_lshrrev_b32_e32 v11, 16, v1
	v_fma_mixlo_f16 v12, v1, s8, 0 op_sel:[1,0,0] op_sel_hi:[1,0,0]
	v_fma_mixlo_f16 v13, v1, s5, 0 op_sel:[1,0,0] op_sel_hi:[1,0,0]
	s_delay_alu instid0(VALU_DEP_2) | instskip(NEXT) | instid1(VALU_DEP_1)
	v_fma_f16 v12, v11, v12, 1.0
	v_mul_f16_e32 v12, v12, v13
                                        ; implicit-def: $vgpr13
	s_delay_alu instid0(VALU_DEP_1) | instskip(NEXT) | instid1(VALU_DEP_1)
	v_cvt_f32_f16_e32 v12, v12
	v_cmp_ngt_f32_e64 s0, 0x3f200000, |v12|
	s_delay_alu instid0(VALU_DEP_1) | instskip(NEXT) | instid1(SALU_CYCLE_1)
	s_and_saveexec_b32 s10, s0
	s_xor_b32 s0, exec_lo, s10
	s_cbranch_execz .LBB72_9
; %bb.8:                                ;   in Loop: Header=BB72_3 Depth=1
	v_add_f32_e64 v13, |v12|, |v12|
	s_delay_alu instid0(VALU_DEP_1) | instskip(SKIP_1) | instid1(VALU_DEP_2)
	v_mul_f32_e32 v14, 0x3fb8aa3b, v13
	v_cmp_ngt_f32_e32 vcc_lo, 0xc2ce8ed0, v13
	v_rndne_f32_e32 v15, v14
	v_fma_f32 v16, 0x3fb8aa3b, v13, -v14
	s_delay_alu instid0(VALU_DEP_2) | instskip(NEXT) | instid1(VALU_DEP_2)
	v_sub_f32_e32 v14, v14, v15
	v_fmac_f32_e32 v16, 0x32a5705f, v13
	v_cvt_i32_f32_e32 v15, v15
	s_delay_alu instid0(VALU_DEP_2) | instskip(NEXT) | instid1(VALU_DEP_1)
	v_add_f32_e32 v14, v14, v16
	v_exp_f32_e32 v14, v14
	s_waitcnt_depctr 0xfff
	v_ldexp_f32 v14, v14, v15
	s_delay_alu instid0(VALU_DEP_1) | instskip(SKIP_1) | instid1(VALU_DEP_2)
	v_cndmask_b32_e32 v14, 0, v14, vcc_lo
	v_cmp_nlt_f32_e32 vcc_lo, 0x42b17218, v13
	v_cndmask_b32_e32 v13, 0x7f800000, v14, vcc_lo
	s_delay_alu instid0(VALU_DEP_1) | instskip(NEXT) | instid1(VALU_DEP_1)
	v_add_f32_e32 v13, 1.0, v13
	v_rcp_f32_e32 v13, v13
	s_waitcnt_depctr 0xfff
	v_fma_f32 v13, v13, -2.0, 1.0
.LBB72_9:                               ;   in Loop: Header=BB72_3 Depth=1
	s_and_not1_saveexec_b32 s0, s0
; %bb.10:                               ;   in Loop: Header=BB72_3 Depth=1
	v_mul_f32_e32 v13, v12, v12
	s_delay_alu instid0(VALU_DEP_1) | instskip(NEXT) | instid1(VALU_DEP_1)
	v_fmaak_f32 v14, s9, v13, 0x3ca908c9
	v_fmaak_f32 v14, v13, v14, 0xbd5c1c4e
	s_delay_alu instid0(VALU_DEP_1) | instskip(NEXT) | instid1(VALU_DEP_1)
	v_fmaak_f32 v14, v13, v14, 0x3e088382
	v_fmaak_f32 v14, v13, v14, 0xbeaaaa99
	s_delay_alu instid0(VALU_DEP_1) | instskip(NEXT) | instid1(VALU_DEP_1)
	v_mul_f32_e64 v14, |v12|, v14
	v_fma_f32 v13, v13, v14, |v12|
; %bb.11:                               ;   in Loop: Header=BB72_3 Depth=1
	s_or_b32 exec_lo, exec_lo, s0
	v_fma_mixlo_f16 v14, v2, s8, 0 op_sel_hi:[1,0,0]
	v_fma_mixlo_f16 v15, v2, s5, 0 op_sel_hi:[1,0,0]
	s_delay_alu instid0(VALU_DEP_2) | instskip(NEXT) | instid1(VALU_DEP_1)
	v_fma_f16 v14, v2, v14, 1.0
	v_mul_f16_e32 v14, v14, v15
                                        ; implicit-def: $vgpr15
	s_delay_alu instid0(VALU_DEP_1) | instskip(NEXT) | instid1(VALU_DEP_1)
	v_cvt_f32_f16_e32 v14, v14
	v_cmp_ngt_f32_e64 s0, 0x3f200000, |v14|
	s_delay_alu instid0(VALU_DEP_1) | instskip(NEXT) | instid1(SALU_CYCLE_1)
	s_and_saveexec_b32 s10, s0
	s_xor_b32 s0, exec_lo, s10
	s_cbranch_execz .LBB72_13
; %bb.12:                               ;   in Loop: Header=BB72_3 Depth=1
	v_add_f32_e64 v15, |v14|, |v14|
	s_delay_alu instid0(VALU_DEP_1) | instskip(SKIP_1) | instid1(VALU_DEP_2)
	v_mul_f32_e32 v16, 0x3fb8aa3b, v15
	v_cmp_ngt_f32_e32 vcc_lo, 0xc2ce8ed0, v15
	v_rndne_f32_e32 v17, v16
	v_fma_f32 v18, 0x3fb8aa3b, v15, -v16
	s_delay_alu instid0(VALU_DEP_2) | instskip(NEXT) | instid1(VALU_DEP_2)
	v_sub_f32_e32 v16, v16, v17
	v_fmac_f32_e32 v18, 0x32a5705f, v15
	v_cvt_i32_f32_e32 v17, v17
	s_delay_alu instid0(VALU_DEP_2) | instskip(NEXT) | instid1(VALU_DEP_1)
	v_add_f32_e32 v16, v16, v18
	v_exp_f32_e32 v16, v16
	s_waitcnt_depctr 0xfff
	v_ldexp_f32 v16, v16, v17
	s_delay_alu instid0(VALU_DEP_1) | instskip(SKIP_1) | instid1(VALU_DEP_2)
	v_cndmask_b32_e32 v16, 0, v16, vcc_lo
	v_cmp_nlt_f32_e32 vcc_lo, 0x42b17218, v15
	v_cndmask_b32_e32 v15, 0x7f800000, v16, vcc_lo
	s_delay_alu instid0(VALU_DEP_1) | instskip(NEXT) | instid1(VALU_DEP_1)
	v_add_f32_e32 v15, 1.0, v15
	v_rcp_f32_e32 v15, v15
	s_waitcnt_depctr 0xfff
	v_fma_f32 v15, v15, -2.0, 1.0
.LBB72_13:                              ;   in Loop: Header=BB72_3 Depth=1
	s_and_not1_saveexec_b32 s0, s0
; %bb.14:                               ;   in Loop: Header=BB72_3 Depth=1
	v_mul_f32_e32 v15, v14, v14
	s_delay_alu instid0(VALU_DEP_1) | instskip(NEXT) | instid1(VALU_DEP_1)
	v_fmaak_f32 v16, s9, v15, 0x3ca908c9
	v_fmaak_f32 v16, v15, v16, 0xbd5c1c4e
	s_delay_alu instid0(VALU_DEP_1) | instskip(NEXT) | instid1(VALU_DEP_1)
	v_fmaak_f32 v16, v15, v16, 0x3e088382
	v_fmaak_f32 v16, v15, v16, 0xbeaaaa99
	s_delay_alu instid0(VALU_DEP_1) | instskip(NEXT) | instid1(VALU_DEP_1)
	v_mul_f32_e64 v16, |v14|, v16
	v_fma_f32 v15, v15, v16, |v14|
; %bb.15:                               ;   in Loop: Header=BB72_3 Depth=1
	s_or_b32 exec_lo, exec_lo, s0
	v_lshrrev_b32_e32 v16, 16, v2
	v_fma_mixlo_f16 v17, v2, s8, 0 op_sel:[1,0,0] op_sel_hi:[1,0,0]
	v_fma_mixlo_f16 v18, v2, s5, 0 op_sel:[1,0,0] op_sel_hi:[1,0,0]
	s_delay_alu instid0(VALU_DEP_2) | instskip(NEXT) | instid1(VALU_DEP_1)
	v_fma_f16 v17, v16, v17, 1.0
	v_mul_f16_e32 v17, v17, v18
                                        ; implicit-def: $vgpr18
	s_delay_alu instid0(VALU_DEP_1) | instskip(NEXT) | instid1(VALU_DEP_1)
	v_cvt_f32_f16_e32 v17, v17
	v_cmp_ngt_f32_e64 s0, 0x3f200000, |v17|
	s_delay_alu instid0(VALU_DEP_1) | instskip(NEXT) | instid1(SALU_CYCLE_1)
	s_and_saveexec_b32 s10, s0
	s_xor_b32 s0, exec_lo, s10
	s_cbranch_execz .LBB72_17
; %bb.16:                               ;   in Loop: Header=BB72_3 Depth=1
	v_add_f32_e64 v18, |v17|, |v17|
	s_delay_alu instid0(VALU_DEP_1) | instskip(SKIP_1) | instid1(VALU_DEP_2)
	v_mul_f32_e32 v19, 0x3fb8aa3b, v18
	v_cmp_ngt_f32_e32 vcc_lo, 0xc2ce8ed0, v18
	v_rndne_f32_e32 v20, v19
	v_fma_f32 v21, 0x3fb8aa3b, v18, -v19
	s_delay_alu instid0(VALU_DEP_2) | instskip(NEXT) | instid1(VALU_DEP_2)
	v_sub_f32_e32 v19, v19, v20
	v_fmac_f32_e32 v21, 0x32a5705f, v18
	v_cvt_i32_f32_e32 v20, v20
	s_delay_alu instid0(VALU_DEP_2) | instskip(NEXT) | instid1(VALU_DEP_1)
	v_add_f32_e32 v19, v19, v21
	v_exp_f32_e32 v19, v19
	s_waitcnt_depctr 0xfff
	v_ldexp_f32 v19, v19, v20
	s_delay_alu instid0(VALU_DEP_1) | instskip(SKIP_1) | instid1(VALU_DEP_2)
	v_cndmask_b32_e32 v19, 0, v19, vcc_lo
	v_cmp_nlt_f32_e32 vcc_lo, 0x42b17218, v18
	v_cndmask_b32_e32 v18, 0x7f800000, v19, vcc_lo
	s_delay_alu instid0(VALU_DEP_1) | instskip(NEXT) | instid1(VALU_DEP_1)
	v_add_f32_e32 v18, 1.0, v18
	v_rcp_f32_e32 v18, v18
	s_waitcnt_depctr 0xfff
	v_fma_f32 v18, v18, -2.0, 1.0
.LBB72_17:                              ;   in Loop: Header=BB72_3 Depth=1
	s_and_not1_saveexec_b32 s0, s0
; %bb.18:                               ;   in Loop: Header=BB72_3 Depth=1
	v_mul_f32_e32 v18, v17, v17
	s_delay_alu instid0(VALU_DEP_1) | instskip(NEXT) | instid1(VALU_DEP_1)
	v_fmaak_f32 v19, s9, v18, 0x3ca908c9
	v_fmaak_f32 v19, v18, v19, 0xbd5c1c4e
	s_delay_alu instid0(VALU_DEP_1) | instskip(NEXT) | instid1(VALU_DEP_1)
	v_fmaak_f32 v19, v18, v19, 0x3e088382
	v_fmaak_f32 v19, v18, v19, 0xbeaaaa99
	s_delay_alu instid0(VALU_DEP_1) | instskip(NEXT) | instid1(VALU_DEP_1)
	v_mul_f32_e64 v19, |v17|, v19
	v_fma_f32 v18, v18, v19, |v17|
; %bb.19:                               ;   in Loop: Header=BB72_3 Depth=1
	s_or_b32 exec_lo, exec_lo, s0
	v_fma_mixlo_f16 v19, v3, s8, 0 op_sel_hi:[1,0,0]
	v_fma_mixlo_f16 v20, v3, s5, 0 op_sel_hi:[1,0,0]
	s_delay_alu instid0(VALU_DEP_2) | instskip(NEXT) | instid1(VALU_DEP_1)
	v_fma_f16 v19, v3, v19, 1.0
	v_mul_f16_e32 v19, v19, v20
                                        ; implicit-def: $vgpr20
	s_delay_alu instid0(VALU_DEP_1) | instskip(NEXT) | instid1(VALU_DEP_1)
	v_cvt_f32_f16_e32 v19, v19
	v_cmp_ngt_f32_e64 s0, 0x3f200000, |v19|
	s_delay_alu instid0(VALU_DEP_1) | instskip(NEXT) | instid1(SALU_CYCLE_1)
	s_and_saveexec_b32 s10, s0
	s_xor_b32 s0, exec_lo, s10
	s_cbranch_execz .LBB72_21
; %bb.20:                               ;   in Loop: Header=BB72_3 Depth=1
	v_add_f32_e64 v20, |v19|, |v19|
	s_delay_alu instid0(VALU_DEP_1) | instskip(SKIP_1) | instid1(VALU_DEP_2)
	v_mul_f32_e32 v21, 0x3fb8aa3b, v20
	v_cmp_ngt_f32_e32 vcc_lo, 0xc2ce8ed0, v20
	v_rndne_f32_e32 v22, v21
	v_fma_f32 v23, 0x3fb8aa3b, v20, -v21
	s_delay_alu instid0(VALU_DEP_2) | instskip(NEXT) | instid1(VALU_DEP_2)
	v_sub_f32_e32 v21, v21, v22
	v_fmac_f32_e32 v23, 0x32a5705f, v20
	v_cvt_i32_f32_e32 v22, v22
	s_delay_alu instid0(VALU_DEP_2) | instskip(NEXT) | instid1(VALU_DEP_1)
	v_add_f32_e32 v21, v21, v23
	v_exp_f32_e32 v21, v21
	s_waitcnt_depctr 0xfff
	v_ldexp_f32 v21, v21, v22
	s_delay_alu instid0(VALU_DEP_1) | instskip(SKIP_1) | instid1(VALU_DEP_2)
	v_cndmask_b32_e32 v21, 0, v21, vcc_lo
	v_cmp_nlt_f32_e32 vcc_lo, 0x42b17218, v20
	v_cndmask_b32_e32 v20, 0x7f800000, v21, vcc_lo
	s_delay_alu instid0(VALU_DEP_1) | instskip(NEXT) | instid1(VALU_DEP_1)
	v_add_f32_e32 v20, 1.0, v20
	v_rcp_f32_e32 v20, v20
	s_waitcnt_depctr 0xfff
	v_fma_f32 v20, v20, -2.0, 1.0
.LBB72_21:                              ;   in Loop: Header=BB72_3 Depth=1
	s_and_not1_saveexec_b32 s0, s0
; %bb.22:                               ;   in Loop: Header=BB72_3 Depth=1
	v_mul_f32_e32 v20, v19, v19
	s_delay_alu instid0(VALU_DEP_1) | instskip(NEXT) | instid1(VALU_DEP_1)
	v_fmaak_f32 v21, s9, v20, 0x3ca908c9
	v_fmaak_f32 v21, v20, v21, 0xbd5c1c4e
	s_delay_alu instid0(VALU_DEP_1) | instskip(NEXT) | instid1(VALU_DEP_1)
	v_fmaak_f32 v21, v20, v21, 0x3e088382
	v_fmaak_f32 v21, v20, v21, 0xbeaaaa99
	s_delay_alu instid0(VALU_DEP_1) | instskip(NEXT) | instid1(VALU_DEP_1)
	v_mul_f32_e64 v21, |v19|, v21
	v_fma_f32 v20, v20, v21, |v19|
; %bb.23:                               ;   in Loop: Header=BB72_3 Depth=1
	s_or_b32 exec_lo, exec_lo, s0
	v_lshrrev_b32_e32 v21, 16, v3
	v_fma_mixlo_f16 v22, v3, s8, 0 op_sel:[1,0,0] op_sel_hi:[1,0,0]
	v_fma_mixlo_f16 v23, v3, s5, 0 op_sel:[1,0,0] op_sel_hi:[1,0,0]
	s_delay_alu instid0(VALU_DEP_2) | instskip(NEXT) | instid1(VALU_DEP_1)
	v_fma_f16 v22, v21, v22, 1.0
	v_mul_f16_e32 v22, v22, v23
                                        ; implicit-def: $vgpr23
	s_delay_alu instid0(VALU_DEP_1) | instskip(NEXT) | instid1(VALU_DEP_1)
	v_cvt_f32_f16_e32 v22, v22
	v_cmp_ngt_f32_e64 s0, 0x3f200000, |v22|
	s_delay_alu instid0(VALU_DEP_1) | instskip(NEXT) | instid1(SALU_CYCLE_1)
	s_and_saveexec_b32 s10, s0
	s_xor_b32 s0, exec_lo, s10
	s_cbranch_execz .LBB72_25
; %bb.24:                               ;   in Loop: Header=BB72_3 Depth=1
	v_add_f32_e64 v23, |v22|, |v22|
	s_delay_alu instid0(VALU_DEP_1) | instskip(SKIP_1) | instid1(VALU_DEP_2)
	v_mul_f32_e32 v24, 0x3fb8aa3b, v23
	v_cmp_ngt_f32_e32 vcc_lo, 0xc2ce8ed0, v23
	v_rndne_f32_e32 v25, v24
	v_fma_f32 v26, 0x3fb8aa3b, v23, -v24
	s_delay_alu instid0(VALU_DEP_2) | instskip(NEXT) | instid1(VALU_DEP_2)
	v_sub_f32_e32 v24, v24, v25
	v_fmac_f32_e32 v26, 0x32a5705f, v23
	v_cvt_i32_f32_e32 v25, v25
	s_delay_alu instid0(VALU_DEP_2) | instskip(NEXT) | instid1(VALU_DEP_1)
	v_add_f32_e32 v24, v24, v26
	v_exp_f32_e32 v24, v24
	s_waitcnt_depctr 0xfff
	v_ldexp_f32 v24, v24, v25
	s_delay_alu instid0(VALU_DEP_1) | instskip(SKIP_1) | instid1(VALU_DEP_2)
	v_cndmask_b32_e32 v24, 0, v24, vcc_lo
	v_cmp_nlt_f32_e32 vcc_lo, 0x42b17218, v23
	v_cndmask_b32_e32 v23, 0x7f800000, v24, vcc_lo
	s_delay_alu instid0(VALU_DEP_1) | instskip(NEXT) | instid1(VALU_DEP_1)
	v_add_f32_e32 v23, 1.0, v23
	v_rcp_f32_e32 v23, v23
	s_waitcnt_depctr 0xfff
	v_fma_f32 v23, v23, -2.0, 1.0
.LBB72_25:                              ;   in Loop: Header=BB72_3 Depth=1
	s_and_not1_saveexec_b32 s0, s0
; %bb.26:                               ;   in Loop: Header=BB72_3 Depth=1
	v_mul_f32_e32 v23, v22, v22
	s_delay_alu instid0(VALU_DEP_1) | instskip(NEXT) | instid1(VALU_DEP_1)
	v_fmaak_f32 v24, s9, v23, 0x3ca908c9
	v_fmaak_f32 v24, v23, v24, 0xbd5c1c4e
	s_delay_alu instid0(VALU_DEP_1) | instskip(NEXT) | instid1(VALU_DEP_1)
	v_fmaak_f32 v24, v23, v24, 0x3e088382
	v_fmaak_f32 v24, v23, v24, 0xbeaaaa99
	s_delay_alu instid0(VALU_DEP_1) | instskip(NEXT) | instid1(VALU_DEP_1)
	v_mul_f32_e64 v24, |v22|, v24
	v_fma_f32 v23, v23, v24, |v22|
; %bb.27:                               ;   in Loop: Header=BB72_3 Depth=1
	s_or_b32 exec_lo, exec_lo, s0
	v_fma_mixlo_f16 v24, v4, s8, 0 op_sel_hi:[1,0,0]
	v_fma_mixlo_f16 v25, v4, s5, 0 op_sel_hi:[1,0,0]
                                        ; implicit-def: $vgpr27
	s_delay_alu instid0(VALU_DEP_2) | instskip(NEXT) | instid1(VALU_DEP_1)
	v_fma_f16 v24, v4, v24, 1.0
	v_mul_f16_e32 v24, v24, v25
	s_delay_alu instid0(VALU_DEP_1) | instskip(NEXT) | instid1(VALU_DEP_1)
	v_cvt_f32_f16_e32 v25, v24
	v_cmp_ngt_f32_e64 s0, 0x3f200000, |v25|
	s_delay_alu instid0(VALU_DEP_1) | instskip(NEXT) | instid1(SALU_CYCLE_1)
	s_and_saveexec_b32 s10, s0
	s_xor_b32 s0, exec_lo, s10
	s_cbranch_execz .LBB72_29
; %bb.28:                               ;   in Loop: Header=BB72_3 Depth=1
	v_add_f32_e64 v24, |v25|, |v25|
	s_delay_alu instid0(VALU_DEP_1) | instskip(SKIP_1) | instid1(VALU_DEP_2)
	v_mul_f32_e32 v26, 0x3fb8aa3b, v24
	v_cmp_ngt_f32_e32 vcc_lo, 0xc2ce8ed0, v24
	v_rndne_f32_e32 v27, v26
	v_fma_f32 v28, 0x3fb8aa3b, v24, -v26
	s_delay_alu instid0(VALU_DEP_2) | instskip(NEXT) | instid1(VALU_DEP_2)
	v_sub_f32_e32 v26, v26, v27
	v_fmac_f32_e32 v28, 0x32a5705f, v24
	v_cvt_i32_f32_e32 v27, v27
	s_delay_alu instid0(VALU_DEP_2) | instskip(NEXT) | instid1(VALU_DEP_1)
	v_add_f32_e32 v26, v26, v28
	v_exp_f32_e32 v26, v26
	s_waitcnt_depctr 0xfff
	v_ldexp_f32 v26, v26, v27
	s_delay_alu instid0(VALU_DEP_1) | instskip(SKIP_1) | instid1(VALU_DEP_2)
	v_cndmask_b32_e32 v26, 0, v26, vcc_lo
	v_cmp_nlt_f32_e32 vcc_lo, 0x42b17218, v24
	v_cndmask_b32_e32 v24, 0x7f800000, v26, vcc_lo
	s_delay_alu instid0(VALU_DEP_1) | instskip(NEXT) | instid1(VALU_DEP_1)
	v_add_f32_e32 v24, 1.0, v24
	v_rcp_f32_e32 v24, v24
	s_waitcnt_depctr 0xfff
	v_fma_f32 v27, v24, -2.0, 1.0
.LBB72_29:                              ;   in Loop: Header=BB72_3 Depth=1
	s_and_not1_saveexec_b32 s0, s0
; %bb.30:                               ;   in Loop: Header=BB72_3 Depth=1
	v_mul_f32_e32 v24, v25, v25
	s_delay_alu instid0(VALU_DEP_1) | instskip(NEXT) | instid1(VALU_DEP_1)
	v_fmaak_f32 v26, s9, v24, 0x3ca908c9
	v_fmaak_f32 v26, v24, v26, 0xbd5c1c4e
	s_delay_alu instid0(VALU_DEP_1) | instskip(NEXT) | instid1(VALU_DEP_1)
	v_fmaak_f32 v26, v24, v26, 0x3e088382
	v_fmaak_f32 v26, v24, v26, 0xbeaaaa99
	s_delay_alu instid0(VALU_DEP_1) | instskip(NEXT) | instid1(VALU_DEP_1)
	v_mul_f32_e64 v26, |v25|, v26
	v_fma_f32 v27, v24, v26, |v25|
; %bb.31:                               ;   in Loop: Header=BB72_3 Depth=1
	s_or_b32 exec_lo, exec_lo, s0
	v_lshrrev_b32_e32 v24, 16, v4
	v_fma_mixlo_f16 v26, v4, s8, 0 op_sel:[1,0,0] op_sel_hi:[1,0,0]
	v_fma_mixlo_f16 v28, v4, s5, 0 op_sel:[1,0,0] op_sel_hi:[1,0,0]
	s_delay_alu instid0(VALU_DEP_2) | instskip(NEXT) | instid1(VALU_DEP_1)
	v_fma_f16 v26, v24, v26, 1.0
	v_mul_f16_e32 v26, v26, v28
                                        ; implicit-def: $vgpr28
	s_delay_alu instid0(VALU_DEP_1) | instskip(NEXT) | instid1(VALU_DEP_1)
	v_cvt_f32_f16_e32 v26, v26
	v_cmp_ngt_f32_e64 s0, 0x3f200000, |v26|
	s_delay_alu instid0(VALU_DEP_1) | instskip(NEXT) | instid1(SALU_CYCLE_1)
	s_and_saveexec_b32 s10, s0
	s_xor_b32 s0, exec_lo, s10
	s_cbranch_execz .LBB72_33
; %bb.32:                               ;   in Loop: Header=BB72_3 Depth=1
	v_add_f32_e64 v28, |v26|, |v26|
	s_delay_alu instid0(VALU_DEP_1) | instskip(SKIP_1) | instid1(VALU_DEP_2)
	v_mul_f32_e32 v29, 0x3fb8aa3b, v28
	v_cmp_ngt_f32_e32 vcc_lo, 0xc2ce8ed0, v28
	v_rndne_f32_e32 v30, v29
	v_fma_f32 v31, 0x3fb8aa3b, v28, -v29
	s_delay_alu instid0(VALU_DEP_2) | instskip(NEXT) | instid1(VALU_DEP_2)
	v_sub_f32_e32 v29, v29, v30
	v_fmac_f32_e32 v31, 0x32a5705f, v28
	v_cvt_i32_f32_e32 v30, v30
	s_delay_alu instid0(VALU_DEP_2) | instskip(NEXT) | instid1(VALU_DEP_1)
	v_add_f32_e32 v29, v29, v31
	v_exp_f32_e32 v29, v29
	s_waitcnt_depctr 0xfff
	v_ldexp_f32 v29, v29, v30
	s_delay_alu instid0(VALU_DEP_1) | instskip(SKIP_1) | instid1(VALU_DEP_2)
	v_cndmask_b32_e32 v29, 0, v29, vcc_lo
	v_cmp_nlt_f32_e32 vcc_lo, 0x42b17218, v28
	v_cndmask_b32_e32 v28, 0x7f800000, v29, vcc_lo
	s_delay_alu instid0(VALU_DEP_1) | instskip(NEXT) | instid1(VALU_DEP_1)
	v_add_f32_e32 v28, 1.0, v28
	v_rcp_f32_e32 v28, v28
	s_waitcnt_depctr 0xfff
	v_fma_f32 v28, v28, -2.0, 1.0
.LBB72_33:                              ;   in Loop: Header=BB72_3 Depth=1
	s_and_not1_saveexec_b32 s0, s0
	s_cbranch_execz .LBB72_2
; %bb.34:                               ;   in Loop: Header=BB72_3 Depth=1
	v_mul_f32_e32 v28, v26, v26
	s_delay_alu instid0(VALU_DEP_1) | instskip(NEXT) | instid1(VALU_DEP_1)
	v_fmaak_f32 v29, s9, v28, 0x3ca908c9
	v_fmaak_f32 v29, v28, v29, 0xbd5c1c4e
	s_delay_alu instid0(VALU_DEP_1) | instskip(NEXT) | instid1(VALU_DEP_1)
	v_fmaak_f32 v29, v28, v29, 0x3e088382
	v_fmaak_f32 v29, v28, v29, 0xbeaaaa99
	s_delay_alu instid0(VALU_DEP_1) | instskip(NEXT) | instid1(VALU_DEP_1)
	v_mul_f32_e64 v29, |v26|, v29
	v_fma_f32 v28, v28, v29, |v26|
	s_branch .LBB72_2
.LBB72_35:
	s_nop 0
	s_sendmsg sendmsg(MSG_DEALLOC_VGPRS)
	s_endpgm
	.section	.rodata,"a",@progbits
	.p2align	6, 0x0
	.amdhsa_kernel _ZN4vllm17activation_kernelIN3c104HalfETnPFT_RKS3_EXadL_ZNS_16gelu_fast_kernelIS2_EES3_S5_EELb1ELb0EEEvPS3_PS4_i
		.amdhsa_group_segment_fixed_size 0
		.amdhsa_private_segment_fixed_size 0
		.amdhsa_kernarg_size 280
		.amdhsa_user_sgpr_count 15
		.amdhsa_user_sgpr_dispatch_ptr 0
		.amdhsa_user_sgpr_queue_ptr 0
		.amdhsa_user_sgpr_kernarg_segment_ptr 1
		.amdhsa_user_sgpr_dispatch_id 0
		.amdhsa_user_sgpr_private_segment_size 0
		.amdhsa_wavefront_size32 1
		.amdhsa_uses_dynamic_stack 0
		.amdhsa_enable_private_segment 0
		.amdhsa_system_sgpr_workgroup_id_x 1
		.amdhsa_system_sgpr_workgroup_id_y 0
		.amdhsa_system_sgpr_workgroup_id_z 0
		.amdhsa_system_sgpr_workgroup_info 0
		.amdhsa_system_vgpr_workitem_id 0
		.amdhsa_next_free_vgpr 32
		.amdhsa_next_free_sgpr 16
		.amdhsa_reserve_vcc 1
		.amdhsa_float_round_mode_32 0
		.amdhsa_float_round_mode_16_64 0
		.amdhsa_float_denorm_mode_32 3
		.amdhsa_float_denorm_mode_16_64 3
		.amdhsa_dx10_clamp 1
		.amdhsa_ieee_mode 1
		.amdhsa_fp16_overflow 0
		.amdhsa_workgroup_processor_mode 1
		.amdhsa_memory_ordered 1
		.amdhsa_forward_progress 0
		.amdhsa_shared_vgpr_count 0
		.amdhsa_exception_fp_ieee_invalid_op 0
		.amdhsa_exception_fp_denorm_src 0
		.amdhsa_exception_fp_ieee_div_zero 0
		.amdhsa_exception_fp_ieee_overflow 0
		.amdhsa_exception_fp_ieee_underflow 0
		.amdhsa_exception_fp_ieee_inexact 0
		.amdhsa_exception_int_div_zero 0
	.end_amdhsa_kernel
	.section	.text._ZN4vllm17activation_kernelIN3c104HalfETnPFT_RKS3_EXadL_ZNS_16gelu_fast_kernelIS2_EES3_S5_EELb1ELb0EEEvPS3_PS4_i,"axG",@progbits,_ZN4vllm17activation_kernelIN3c104HalfETnPFT_RKS3_EXadL_ZNS_16gelu_fast_kernelIS2_EES3_S5_EELb1ELb0EEEvPS3_PS4_i,comdat
.Lfunc_end72:
	.size	_ZN4vllm17activation_kernelIN3c104HalfETnPFT_RKS3_EXadL_ZNS_16gelu_fast_kernelIS2_EES3_S5_EELb1ELb0EEEvPS3_PS4_i, .Lfunc_end72-_ZN4vllm17activation_kernelIN3c104HalfETnPFT_RKS3_EXadL_ZNS_16gelu_fast_kernelIS2_EES3_S5_EELb1ELb0EEEvPS3_PS4_i
                                        ; -- End function
	.section	.AMDGPU.csdata,"",@progbits
; Kernel info:
; codeLenInByte = 2792
; NumSgprs: 18
; NumVgprs: 32
; ScratchSize: 0
; MemoryBound: 0
; FloatMode: 240
; IeeeMode: 1
; LDSByteSize: 0 bytes/workgroup (compile time only)
; SGPRBlocks: 2
; VGPRBlocks: 3
; NumSGPRsForWavesPerEU: 18
; NumVGPRsForWavesPerEU: 32
; Occupancy: 16
; WaveLimiterHint : 0
; COMPUTE_PGM_RSRC2:SCRATCH_EN: 0
; COMPUTE_PGM_RSRC2:USER_SGPR: 15
; COMPUTE_PGM_RSRC2:TRAP_HANDLER: 0
; COMPUTE_PGM_RSRC2:TGID_X_EN: 1
; COMPUTE_PGM_RSRC2:TGID_Y_EN: 0
; COMPUTE_PGM_RSRC2:TGID_Z_EN: 0
; COMPUTE_PGM_RSRC2:TIDIG_COMP_CNT: 0
	.section	.text._ZN4vllm17activation_kernelIN3c108BFloat16ETnPFT_RKS3_EXadL_ZNS_16gelu_fast_kernelIS2_EES3_S5_EELb1ELb0EEEvPS3_PS4_i,"axG",@progbits,_ZN4vllm17activation_kernelIN3c108BFloat16ETnPFT_RKS3_EXadL_ZNS_16gelu_fast_kernelIS2_EES3_S5_EELb1ELb0EEEvPS3_PS4_i,comdat
	.protected	_ZN4vllm17activation_kernelIN3c108BFloat16ETnPFT_RKS3_EXadL_ZNS_16gelu_fast_kernelIS2_EES3_S5_EELb1ELb0EEEvPS3_PS4_i ; -- Begin function _ZN4vllm17activation_kernelIN3c108BFloat16ETnPFT_RKS3_EXadL_ZNS_16gelu_fast_kernelIS2_EES3_S5_EELb1ELb0EEEvPS3_PS4_i
	.globl	_ZN4vllm17activation_kernelIN3c108BFloat16ETnPFT_RKS3_EXadL_ZNS_16gelu_fast_kernelIS2_EES3_S5_EELb1ELb0EEEvPS3_PS4_i
	.p2align	8
	.type	_ZN4vllm17activation_kernelIN3c108BFloat16ETnPFT_RKS3_EXadL_ZNS_16gelu_fast_kernelIS2_EES3_S5_EELb1ELb0EEEvPS3_PS4_i,@function
_ZN4vllm17activation_kernelIN3c108BFloat16ETnPFT_RKS3_EXadL_ZNS_16gelu_fast_kernelIS2_EES3_S5_EELb1ELb0EEEvPS3_PS4_i: ; @_ZN4vllm17activation_kernelIN3c108BFloat16ETnPFT_RKS3_EXadL_ZNS_16gelu_fast_kernelIS2_EES3_S5_EELb1ELb0EEEvPS3_PS4_i
; %bb.0:
	s_load_b32 s2, s[0:1], 0x10
	s_waitcnt lgkmcnt(0)
	s_ashr_i32 s3, s2, 31
	s_delay_alu instid0(SALU_CYCLE_1) | instskip(NEXT) | instid1(SALU_CYCLE_1)
	s_lshr_b32 s3, s3, 29
	s_add_i32 s3, s2, s3
	s_delay_alu instid0(SALU_CYCLE_1)
	s_ashr_i32 s4, s3, 3
	s_mov_b32 s3, exec_lo
	v_cmpx_gt_i32_e64 s4, v0
	s_cbranch_execz .LBB73_35
; %bb.1:
	s_clause 0x1
	s_load_b32 s3, s[0:1], 0x24
	s_load_b128 s[8:11], s[0:1], 0x0
	v_lshlrev_b32_e32 v1, 4, v0
	s_mul_i32 s0, s15, s2
	s_mov_b32 s1, 0
	s_mov_b32 s7, 0xbbbac73d
	s_waitcnt lgkmcnt(0)
	s_and_b32 s5, s3, 0xffff
	v_add_co_u32 v5, s2, s8, v1
	s_delay_alu instid0(VALU_DEP_1) | instskip(SKIP_1) | instid1(VALU_DEP_1)
	v_add_co_ci_u32_e64 v6, null, s9, 0, s2
	v_add_co_u32 v7, s2, s10, v1
	v_add_co_ci_u32_e64 v8, null, s11, 0, s2
	s_lshl_b64 s[2:3], s[0:1], 1
	s_lshl_b32 s6, s5, 4
	s_branch .LBB73_3
.LBB73_2:                               ;   in Loop: Header=BB73_3 Depth=1
	s_or_b32 exec_lo, exec_lo, s0
	v_bfi_b32 v27, 0x7fffffff, v27, v28
	v_bfi_b32 v24, 0x7fffffff, v24, v25
	;; [unrolled: 1-line block ×4, first 2 shown]
	v_dual_mul_f32 v26, 0.5, v26 :: v_dual_mul_f32 v19, 0.5, v19
	v_bfe_u32 v25, v27, 16, 1
	v_bfe_u32 v21, v24, 16, 1
	;; [unrolled: 1-line block ×3, first 2 shown]
	v_bfi_b32 v15, 0x7fffffff, v15, v16
	v_bfe_u32 v16, v26, 16, 1
	v_add3_u32 v18, v27, v25, 0x7fff
	v_add3_u32 v21, v24, v21, 0x7fff
	v_mul_f32_e32 v22, 0.5, v22
	v_cmp_o_f32_e32 vcc_lo, v27, v27
	v_add3_u32 v27, v20, v28, 0x7fff
	v_and_b32_e32 v18, 0xffff0000, v18
	v_dual_mul_f32 v2, 0.5, v2 :: v_dual_and_b32 v21, 0xffff0000, v21
	v_bfe_u32 v25, v22, 16, 1
	v_bfe_u32 v29, v19, 16, 1
	s_delay_alu instid0(VALU_DEP_4) | instskip(SKIP_2) | instid1(VALU_DEP_3)
	v_dual_add_f32 v18, 1.0, v18 :: v_dual_and_b32 v27, 0xffff0000, v27
	v_bfe_u32 v30, v17, 16, 1
	v_add3_u32 v16, v26, v16, 0x7fff
	v_dual_add_f32 v21, 1.0, v21 :: v_dual_cndmask_b32 v18, 0x7fc00000, v18
	v_mul_f32_e32 v1, 0.5, v1
	v_cmp_o_f32_e32 vcc_lo, v24, v24
	v_add3_u32 v25, v22, v25, 0x7fff
	v_add3_u32 v28, v19, v29, 0x7fff
	;; [unrolled: 1-line block ×3, first 2 shown]
	v_bfe_u32 v30, v18, 16, 1
	v_and_b32_e32 v16, 0xffff0000, v16
	v_cndmask_b32_e32 v21, 0x7fc00000, v21, vcc_lo
	v_cmp_o_f32_e32 vcc_lo, v26, v26
	v_dual_add_f32 v24, 1.0, v27 :: v_dual_and_b32 v25, 0xffff0000, v25
	v_add3_u32 v30, v18, v30, 0x7fff
	v_bfi_b32 v12, 0x7fffffff, v12, v13
	v_dual_mul_f32 v13, 0.5, v14 :: v_dual_cndmask_b32 v16, 0x7fc00000, v16
	v_cmp_o_f32_e32 vcc_lo, v20, v20
	s_delay_alu instid0(VALU_DEP_4)
	v_dual_mul_f32 v9, 0.5, v9 :: v_dual_and_b32 v26, 0xffff0000, v30
	v_mul_f32_e32 v3, 0.5, v3
	v_bfi_b32 v10, 0x7fffffff, v10, v11
	v_cndmask_b32_e32 v20, 0x7fc00000, v24, vcc_lo
	v_cmp_o_f32_e32 vcc_lo, v18, v18
	v_bfi_b32 v4, 0x7fffffff, v4, v23
	v_add_nc_u32_e32 v0, s5, v0
	v_add_co_u32 v7, s0, v7, s6
	v_cndmask_b32_e32 v18, 0x7fc00000, v26, vcc_lo
	v_cmp_o_f32_e32 vcc_lo, v22, v22
	v_and_b32_e32 v26, 0xffff0000, v28
	v_bfe_u32 v28, v20, 16, 1
	v_add_co_ci_u32_e64 v8, s0, 0, v8, s0
	v_mul_f32_e32 v16, v16, v18
	v_bfe_u32 v27, v21, 16, 1
	v_cndmask_b32_e32 v22, 0x7fc00000, v25, vcc_lo
	v_cmp_o_f32_e32 vcc_lo, v21, v21
	s_delay_alu instid0(VALU_DEP_4) | instskip(NEXT) | instid1(VALU_DEP_4)
	v_bfe_u32 v25, v16, 16, 1
	v_add3_u32 v24, v21, v27, 0x7fff
	s_delay_alu instid0(VALU_DEP_1) | instskip(SKIP_1) | instid1(VALU_DEP_2)
	v_and_b32_e32 v18, 0xffff0000, v24
	v_add3_u32 v24, v20, v28, 0x7fff
	v_cndmask_b32_e32 v18, 0x7fc00000, v18, vcc_lo
	v_cmp_o_f32_e32 vcc_lo, v19, v19
	v_and_b32_e32 v27, 0xffff0000, v29
	s_delay_alu instid0(VALU_DEP_4) | instskip(SKIP_2) | instid1(VALU_DEP_4)
	v_and_b32_e32 v21, 0xffff0000, v24
	v_add3_u32 v24, v16, v25, 0x7fff
	v_mul_f32_e32 v18, v22, v18
	v_dual_cndmask_b32 v19, 0x7fc00000, v26 :: v_dual_add_f32 v22, 1.0, v27
	v_cmp_o_f32_e32 vcc_lo, v20, v20
	v_cndmask_b32_e32 v20, 0x7fc00000, v21, vcc_lo
	v_cmp_o_f32_e32 vcc_lo, v17, v17
	v_lshrrev_b32_e32 v21, 16, v24
	v_bfe_u32 v24, v18, 16, 1
	s_delay_alu instid0(VALU_DEP_4) | instskip(SKIP_3) | instid1(VALU_DEP_4)
	v_mul_f32_e32 v19, v19, v20
	v_cndmask_b32_e32 v17, 0x7fc00000, v22, vcc_lo
	v_cmp_o_f32_e32 vcc_lo, v16, v16
	v_bfe_u32 v20, v2, 16, 1
	v_bfe_u32 v25, v19, 16, 1
	v_cndmask_b32_e32 v16, 0x7fc0, v21, vcc_lo
	v_add3_u32 v21, v18, v24, 0x7fff
	v_bfe_u32 v24, v15, 16, 1
	v_add3_u32 v20, v2, v20, 0x7fff
	v_cmp_o_f32_e32 vcc_lo, v18, v18
	s_delay_alu instid0(VALU_DEP_4) | instskip(NEXT) | instid1(VALU_DEP_4)
	v_lshrrev_b32_e32 v21, 16, v21
	v_add3_u32 v24, v15, v24, 0x7fff
	s_delay_alu instid0(VALU_DEP_4) | instskip(NEXT) | instid1(VALU_DEP_3)
	v_and_b32_e32 v20, 0xffff0000, v20
	v_cndmask_b32_e32 v18, 0x7fc0, v21, vcc_lo
	s_delay_alu instid0(VALU_DEP_3) | instskip(SKIP_2) | instid1(VALU_DEP_3)
	v_and_b32_e32 v24, 0xffff0000, v24
	v_cmp_o_f32_e32 vcc_lo, v2, v2
	v_add3_u32 v21, v19, v25, 0x7fff
	v_add_f32_e32 v14, 1.0, v24
	v_bfe_u32 v22, v17, 16, 1
	v_cndmask_b32_e32 v2, 0x7fc00000, v20, vcc_lo
	v_bfe_u32 v20, v12, 16, 1
	v_cmp_o_f32_e32 vcc_lo, v17, v17
	v_lshrrev_b32_e32 v21, 16, v21
	v_add3_u32 v22, v17, v22, 0x7fff
	s_delay_alu instid0(VALU_DEP_4) | instskip(NEXT) | instid1(VALU_DEP_2)
	v_add3_u32 v20, v12, v20, 0x7fff
	v_and_b32_e32 v22, 0xffff0000, v22
	s_delay_alu instid0(VALU_DEP_2) | instskip(NEXT) | instid1(VALU_DEP_2)
	v_and_b32_e32 v20, 0xffff0000, v20
	v_cndmask_b32_e32 v17, 0x7fc00000, v22, vcc_lo
	v_cmp_o_f32_e32 vcc_lo, v15, v15
	s_delay_alu instid0(VALU_DEP_3) | instskip(SKIP_1) | instid1(VALU_DEP_4)
	v_add_f32_e32 v20, 1.0, v20
	v_bfe_u32 v15, v13, 16, 1
	v_mul_f32_e32 v2, v2, v17
	v_cndmask_b32_e32 v14, 0x7fc00000, v14, vcc_lo
	v_cmp_o_f32_e32 vcc_lo, v19, v19
	s_delay_alu instid0(VALU_DEP_4) | instskip(NEXT) | instid1(VALU_DEP_3)
	v_add3_u32 v15, v13, v15, 0x7fff
	v_bfe_u32 v17, v14, 16, 1
	v_cndmask_b32_e32 v19, 0x7fc0, v21, vcc_lo
	v_cmp_o_f32_e32 vcc_lo, v12, v12
	s_delay_alu instid0(VALU_DEP_4) | instskip(SKIP_4) | instid1(VALU_DEP_3)
	v_and_b32_e32 v15, 0xffff0000, v15
	v_bfe_u32 v21, v2, 16, 1
	v_add3_u32 v17, v14, v17, 0x7fff
	v_cndmask_b32_e32 v12, 0x7fc00000, v20, vcc_lo
	v_cmp_o_f32_e32 vcc_lo, v13, v13
	v_and_b32_e32 v11, 0xffff0000, v17
	v_bfe_u32 v17, v10, 16, 1
	s_delay_alu instid0(VALU_DEP_4)
	v_bfe_u32 v20, v12, 16, 1
	v_cndmask_b32_e32 v13, 0x7fc00000, v15, vcc_lo
	v_bfe_u32 v15, v1, 16, 1
	v_cmp_o_f32_e32 vcc_lo, v14, v14
	v_add3_u32 v17, v10, v17, 0x7fff
	v_bfe_u32 v14, v4, 16, 1
	v_add3_u32 v20, v12, v20, 0x7fff
	v_add3_u32 v15, v1, v15, 0x7fff
	v_cndmask_b32_e32 v11, 0x7fc00000, v11, vcc_lo
	v_and_b32_e32 v17, 0xffff0000, v17
	v_cmp_o_f32_e32 vcc_lo, v10, v10
	s_delay_alu instid0(VALU_DEP_3) | instskip(SKIP_1) | instid1(VALU_DEP_4)
	v_mul_f32_e32 v11, v13, v11
	v_add3_u32 v13, v4, v14, 0x7fff
	v_dual_add_f32 v15, 1.0, v17 :: v_dual_and_b32 v14, 0xffff0000, v15
	v_and_b32_e32 v17, 0xffff0000, v20
	s_delay_alu instid0(VALU_DEP_3) | instskip(NEXT) | instid1(VALU_DEP_3)
	v_and_b32_e32 v13, 0xffff0000, v13
	v_cndmask_b32_e32 v10, 0x7fc00000, v15, vcc_lo
	v_cmp_o_f32_e32 vcc_lo, v1, v1
	s_delay_alu instid0(VALU_DEP_3) | instskip(NEXT) | instid1(VALU_DEP_3)
	v_add_f32_e32 v13, 1.0, v13
	v_bfe_u32 v15, v10, 16, 1
	v_cndmask_b32_e32 v1, 0x7fc00000, v14, vcc_lo
	v_cmp_o_f32_e32 vcc_lo, v4, v4
	v_bfe_u32 v14, v9, 16, 1
	s_delay_alu instid0(VALU_DEP_4) | instskip(SKIP_2) | instid1(VALU_DEP_4)
	v_add3_u32 v15, v10, v15, 0x7fff
	v_cndmask_b32_e32 v4, 0x7fc00000, v13, vcc_lo
	v_cmp_o_f32_e32 vcc_lo, v12, v12
	v_add3_u32 v13, v9, v14, 0x7fff
	v_bfe_u32 v14, v3, 16, 1
	v_and_b32_e32 v15, 0xffff0000, v15
	v_cndmask_b32_e32 v12, 0x7fc00000, v17, vcc_lo
	v_cmp_o_f32_e32 vcc_lo, v9, v9
	v_bfe_u32 v17, v4, 16, 1
	s_delay_alu instid0(VALU_DEP_3) | instskip(SKIP_1) | instid1(VALU_DEP_3)
	v_dual_mul_f32 v1, v1, v12 :: v_dual_and_b32 v12, 0xffff0000, v13
	v_add3_u32 v13, v3, v14, 0x7fff
	v_add3_u32 v14, v4, v17, 0x7fff
	s_delay_alu instid0(VALU_DEP_3) | instskip(SKIP_1) | instid1(VALU_DEP_4)
	v_cndmask_b32_e32 v9, 0x7fc00000, v12, vcc_lo
	v_cmp_o_f32_e32 vcc_lo, v10, v10
	v_and_b32_e32 v12, 0xffff0000, v13
	s_delay_alu instid0(VALU_DEP_4) | instskip(SKIP_3) | instid1(VALU_DEP_2)
	v_and_b32_e32 v13, 0xffff0000, v14
	v_bfe_u32 v14, v1, 16, 1
	v_cndmask_b32_e32 v10, 0x7fc00000, v15, vcc_lo
	v_cmp_o_f32_e32 vcc_lo, v3, v3
	v_mul_f32_e32 v9, v9, v10
	v_cndmask_b32_e32 v3, 0x7fc00000, v12, vcc_lo
	v_cmp_o_f32_e32 vcc_lo, v4, v4
	v_add3_u32 v12, v2, v21, 0x7fff
	v_cndmask_b32_e32 v4, 0x7fc00000, v13, vcc_lo
	v_bfe_u32 v13, v11, 16, 1
	v_cmp_o_f32_e32 vcc_lo, v2, v2
	s_delay_alu instid0(VALU_DEP_3) | instskip(SKIP_1) | instid1(VALU_DEP_4)
	v_mul_f32_e32 v3, v3, v4
	v_lshrrev_b32_e32 v4, 16, v12
	v_add3_u32 v10, v11, v13, 0x7fff
	v_add3_u32 v12, v1, v14, 0x7fff
	v_bfe_u32 v13, v9, 16, 1
	v_bfe_u32 v14, v3, 16, 1
	v_cndmask_b32_e32 v2, 0x7fc0, v4, vcc_lo
	v_lshrrev_b32_e32 v4, 16, v10
	v_cmp_o_f32_e32 vcc_lo, v11, v11
	v_add3_u32 v10, v9, v13, 0x7fff
	v_lshrrev_b32_e32 v12, 16, v12
	v_add3_u32 v13, v3, v14, 0x7fff
	v_cndmask_b32_e32 v11, 0x7fc0, v4, vcc_lo
	v_cmp_o_f32_e32 vcc_lo, v1, v1
	v_lshrrev_b32_e32 v4, 16, v10
	s_delay_alu instid0(VALU_DEP_4) | instskip(NEXT) | instid1(VALU_DEP_4)
	v_lshrrev_b32_e32 v10, 16, v13
	v_perm_b32 v2, v2, v11, 0x5040100
	v_cndmask_b32_e32 v1, 0x7fc0, v12, vcc_lo
	v_cmp_o_f32_e32 vcc_lo, v9, v9
	v_cndmask_b32_e32 v12, 0x7fc0, v4, vcc_lo
	v_cmp_o_f32_e32 vcc_lo, v3, v3
	s_delay_alu instid0(VALU_DEP_2)
	v_perm_b32 v1, v1, v12, 0x5040100
	v_cndmask_b32_e32 v3, 0x7fc0, v10, vcc_lo
	v_add_co_u32 v9, vcc_lo, v5, s2
	v_add_co_ci_u32_e32 v10, vcc_lo, s3, v6, vcc_lo
	v_add_co_u32 v5, vcc_lo, v5, s6
	v_add_co_ci_u32_e32 v6, vcc_lo, 0, v6, vcc_lo
	v_cmp_le_i32_e32 vcc_lo, s4, v0
	v_perm_b32 v4, v3, v16, 0x5040100
	v_perm_b32 v3, v18, v19, 0x5040100
	s_or_b32 s1, vcc_lo, s1
	global_store_b128 v[9:10], v[1:4], off
	s_and_not1_b32 exec_lo, exec_lo, s1
	s_cbranch_execz .LBB73_35
.LBB73_3:                               ; =>This Inner Loop Header: Depth=1
	v_add_co_u32 v1, vcc_lo, v7, s2
	v_add_co_ci_u32_e32 v2, vcc_lo, s3, v8, vcc_lo
	s_mov_b32 s8, exec_lo
	global_load_b128 v[1:4], v[1:2], off
	s_waitcnt vmcnt(0)
	v_lshlrev_b32_e32 v9, 16, v1
	s_delay_alu instid0(VALU_DEP_1) | instskip(NEXT) | instid1(VALU_DEP_1)
	v_mul_f32_e32 v10, 0x3d372713, v9
	v_bfe_u32 v11, v10, 16, 1
	v_cmp_o_f32_e32 vcc_lo, v10, v10
	s_delay_alu instid0(VALU_DEP_2) | instskip(NEXT) | instid1(VALU_DEP_1)
	v_add3_u32 v11, v10, v11, 0x7fff
	v_and_b32_e32 v11, 0xffff0000, v11
	s_delay_alu instid0(VALU_DEP_1) | instskip(SKIP_1) | instid1(VALU_DEP_2)
	v_cndmask_b32_e32 v10, 0x7fc00000, v11, vcc_lo
	v_mul_f32_e32 v12, 0x3f4c422a, v9
	v_mul_f32_e32 v10, v10, v9
	s_delay_alu instid0(VALU_DEP_1) | instskip(SKIP_1) | instid1(VALU_DEP_2)
	v_bfe_u32 v11, v10, 16, 1
	v_cmp_o_f32_e32 vcc_lo, v10, v10
	v_add3_u32 v11, v10, v11, 0x7fff
	s_delay_alu instid0(VALU_DEP_1) | instskip(NEXT) | instid1(VALU_DEP_1)
	v_and_b32_e32 v11, 0xffff0000, v11
	v_add_f32_e32 v11, 1.0, v11
	s_delay_alu instid0(VALU_DEP_1) | instskip(SKIP_2) | instid1(VALU_DEP_3)
	v_cndmask_b32_e32 v10, 0x7fc00000, v11, vcc_lo
	v_bfe_u32 v11, v12, 16, 1
	v_cmp_o_f32_e32 vcc_lo, v12, v12
	v_bfe_u32 v13, v10, 16, 1
	s_delay_alu instid0(VALU_DEP_3) | instskip(NEXT) | instid1(VALU_DEP_2)
	v_add3_u32 v11, v12, v11, 0x7fff
	v_add3_u32 v13, v10, v13, 0x7fff
	s_delay_alu instid0(VALU_DEP_2) | instskip(NEXT) | instid1(VALU_DEP_1)
	v_and_b32_e32 v11, 0xffff0000, v11
	v_cndmask_b32_e32 v11, 0x7fc00000, v11, vcc_lo
	s_delay_alu instid0(VALU_DEP_3) | instskip(SKIP_1) | instid1(VALU_DEP_2)
	v_and_b32_e32 v13, 0xffff0000, v13
	v_cmp_o_f32_e32 vcc_lo, v10, v10
	v_cndmask_b32_e32 v10, 0x7fc00000, v13, vcc_lo
	s_delay_alu instid0(VALU_DEP_1) | instskip(NEXT) | instid1(VALU_DEP_1)
	v_mul_f32_e32 v10, v11, v10
	v_bfe_u32 v11, v10, 16, 1
	v_cmp_u_f32_e32 vcc_lo, v10, v10
	s_delay_alu instid0(VALU_DEP_2) | instskip(NEXT) | instid1(VALU_DEP_1)
	v_add3_u32 v11, v10, v11, 0x7fff
	v_and_b32_e32 v11, 0xffff0000, v11
	s_delay_alu instid0(VALU_DEP_1) | instskip(NEXT) | instid1(VALU_DEP_1)
	v_cndmask_b32_e64 v10, |v11|, 0x7fc00000, vcc_lo
	v_cmpx_ngt_f32_e32 0x3f200000, v10
	s_xor_b32 s8, exec_lo, s8
	s_cbranch_execz .LBB73_5
; %bb.4:                                ;   in Loop: Header=BB73_3 Depth=1
	v_add_f32_e32 v10, v10, v10
	s_delay_alu instid0(VALU_DEP_1) | instskip(SKIP_1) | instid1(VALU_DEP_2)
	v_mul_f32_e32 v12, 0x3fb8aa3b, v10
	v_cmp_ngt_f32_e64 s0, 0xc2ce8ed0, v10
	v_rndne_f32_e32 v13, v12
	v_fma_f32 v14, 0x3fb8aa3b, v10, -v12
	s_delay_alu instid0(VALU_DEP_2) | instskip(NEXT) | instid1(VALU_DEP_2)
	v_sub_f32_e32 v12, v12, v13
	v_fmac_f32_e32 v14, 0x32a5705f, v10
	v_cvt_i32_f32_e32 v13, v13
	s_delay_alu instid0(VALU_DEP_2) | instskip(NEXT) | instid1(VALU_DEP_1)
	v_add_f32_e32 v12, v12, v14
	v_exp_f32_e32 v12, v12
	s_waitcnt_depctr 0xfff
	v_ldexp_f32 v12, v12, v13
	s_delay_alu instid0(VALU_DEP_1) | instskip(SKIP_1) | instid1(VALU_DEP_1)
	v_cndmask_b32_e64 v12, 0, v12, s0
	v_cmp_nlt_f32_e64 s0, 0x42b17218, v10
	v_cndmask_b32_e64 v10, 0x7f800000, v12, s0
	s_delay_alu instid0(VALU_DEP_1) | instskip(NEXT) | instid1(VALU_DEP_1)
	v_add_f32_e32 v10, 1.0, v10
	v_rcp_f32_e32 v10, v10
	s_waitcnt_depctr 0xfff
	v_fma_f32 v10, v10, -2.0, 1.0
.LBB73_5:                               ;   in Loop: Header=BB73_3 Depth=1
	s_or_saveexec_b32 s0, s8
	v_cndmask_b32_e64 v11, v11, 0x7fc00000, vcc_lo
	s_xor_b32 exec_lo, exec_lo, s0
; %bb.6:                                ;   in Loop: Header=BB73_3 Depth=1
	s_delay_alu instid0(VALU_DEP_1) | instskip(NEXT) | instid1(VALU_DEP_1)
	v_mul_f32_e32 v12, v11, v11
	v_fmaak_f32 v13, s7, v12, 0x3ca908c9
	s_delay_alu instid0(VALU_DEP_1) | instskip(NEXT) | instid1(VALU_DEP_1)
	v_fmaak_f32 v13, v12, v13, 0xbd5c1c4e
	v_fmaak_f32 v13, v12, v13, 0x3e088382
	s_delay_alu instid0(VALU_DEP_1) | instskip(NEXT) | instid1(VALU_DEP_1)
	v_fmaak_f32 v13, v12, v13, 0xbeaaaa99
	v_mul_f32_e32 v13, v10, v13
	s_delay_alu instid0(VALU_DEP_1)
	v_fmac_f32_e32 v10, v12, v13
; %bb.7:                                ;   in Loop: Header=BB73_3 Depth=1
	s_or_b32 exec_lo, exec_lo, s0
	v_and_b32_e32 v1, 0xffff0000, v1
	s_mov_b32 s8, exec_lo
	s_delay_alu instid0(VALU_DEP_1) | instskip(SKIP_1) | instid1(VALU_DEP_2)
	v_mul_f32_e32 v12, 0x3d372713, v1
	v_mul_f32_e32 v14, 0x3f4c422a, v1
	v_bfe_u32 v13, v12, 16, 1
	v_cmp_o_f32_e32 vcc_lo, v12, v12
	s_delay_alu instid0(VALU_DEP_2) | instskip(NEXT) | instid1(VALU_DEP_1)
	v_add3_u32 v13, v12, v13, 0x7fff
	v_and_b32_e32 v13, 0xffff0000, v13
	s_delay_alu instid0(VALU_DEP_1) | instskip(NEXT) | instid1(VALU_DEP_1)
	v_cndmask_b32_e32 v12, 0x7fc00000, v13, vcc_lo
	v_mul_f32_e32 v12, v12, v1
	s_delay_alu instid0(VALU_DEP_1) | instskip(SKIP_1) | instid1(VALU_DEP_2)
	v_bfe_u32 v13, v12, 16, 1
	v_cmp_o_f32_e32 vcc_lo, v12, v12
	v_add3_u32 v13, v12, v13, 0x7fff
	s_delay_alu instid0(VALU_DEP_1) | instskip(NEXT) | instid1(VALU_DEP_1)
	v_and_b32_e32 v13, 0xffff0000, v13
	v_add_f32_e32 v13, 1.0, v13
	s_delay_alu instid0(VALU_DEP_1) | instskip(SKIP_2) | instid1(VALU_DEP_3)
	v_cndmask_b32_e32 v12, 0x7fc00000, v13, vcc_lo
	v_bfe_u32 v13, v14, 16, 1
	v_cmp_o_f32_e32 vcc_lo, v14, v14
	v_bfe_u32 v15, v12, 16, 1
	s_delay_alu instid0(VALU_DEP_3) | instskip(NEXT) | instid1(VALU_DEP_2)
	v_add3_u32 v13, v14, v13, 0x7fff
	v_add3_u32 v15, v12, v15, 0x7fff
	s_delay_alu instid0(VALU_DEP_2) | instskip(NEXT) | instid1(VALU_DEP_2)
	v_and_b32_e32 v13, 0xffff0000, v13
	v_and_b32_e32 v15, 0xffff0000, v15
	s_delay_alu instid0(VALU_DEP_2) | instskip(SKIP_1) | instid1(VALU_DEP_3)
	v_cndmask_b32_e32 v13, 0x7fc00000, v13, vcc_lo
	v_cmp_o_f32_e32 vcc_lo, v12, v12
	v_cndmask_b32_e32 v12, 0x7fc00000, v15, vcc_lo
	s_delay_alu instid0(VALU_DEP_1) | instskip(NEXT) | instid1(VALU_DEP_1)
	v_mul_f32_e32 v12, v13, v12
	v_bfe_u32 v13, v12, 16, 1
	v_cmp_u_f32_e32 vcc_lo, v12, v12
	s_delay_alu instid0(VALU_DEP_2) | instskip(NEXT) | instid1(VALU_DEP_1)
	v_add3_u32 v13, v12, v13, 0x7fff
	v_and_b32_e32 v13, 0xffff0000, v13
	s_delay_alu instid0(VALU_DEP_1) | instskip(NEXT) | instid1(VALU_DEP_1)
	v_cndmask_b32_e64 v12, |v13|, 0x7fc00000, vcc_lo
	v_cmpx_ngt_f32_e32 0x3f200000, v12
	s_xor_b32 s8, exec_lo, s8
	s_cbranch_execz .LBB73_9
; %bb.8:                                ;   in Loop: Header=BB73_3 Depth=1
	v_add_f32_e32 v12, v12, v12
	s_delay_alu instid0(VALU_DEP_1) | instskip(SKIP_1) | instid1(VALU_DEP_2)
	v_mul_f32_e32 v14, 0x3fb8aa3b, v12
	v_cmp_ngt_f32_e64 s0, 0xc2ce8ed0, v12
	v_rndne_f32_e32 v15, v14
	v_fma_f32 v16, 0x3fb8aa3b, v12, -v14
	s_delay_alu instid0(VALU_DEP_2) | instskip(NEXT) | instid1(VALU_DEP_2)
	v_sub_f32_e32 v14, v14, v15
	v_fmac_f32_e32 v16, 0x32a5705f, v12
	v_cvt_i32_f32_e32 v15, v15
	s_delay_alu instid0(VALU_DEP_2) | instskip(NEXT) | instid1(VALU_DEP_1)
	v_add_f32_e32 v14, v14, v16
	v_exp_f32_e32 v14, v14
	s_waitcnt_depctr 0xfff
	v_ldexp_f32 v14, v14, v15
	s_delay_alu instid0(VALU_DEP_1) | instskip(SKIP_1) | instid1(VALU_DEP_1)
	v_cndmask_b32_e64 v14, 0, v14, s0
	v_cmp_nlt_f32_e64 s0, 0x42b17218, v12
	v_cndmask_b32_e64 v12, 0x7f800000, v14, s0
	s_delay_alu instid0(VALU_DEP_1) | instskip(NEXT) | instid1(VALU_DEP_1)
	v_add_f32_e32 v12, 1.0, v12
	v_rcp_f32_e32 v12, v12
	s_waitcnt_depctr 0xfff
	v_fma_f32 v12, v12, -2.0, 1.0
.LBB73_9:                               ;   in Loop: Header=BB73_3 Depth=1
	s_or_saveexec_b32 s0, s8
	v_cndmask_b32_e64 v13, v13, 0x7fc00000, vcc_lo
	s_xor_b32 exec_lo, exec_lo, s0
; %bb.10:                               ;   in Loop: Header=BB73_3 Depth=1
	s_delay_alu instid0(VALU_DEP_1) | instskip(NEXT) | instid1(VALU_DEP_1)
	v_mul_f32_e32 v14, v13, v13
	v_fmaak_f32 v15, s7, v14, 0x3ca908c9
	s_delay_alu instid0(VALU_DEP_1) | instskip(NEXT) | instid1(VALU_DEP_1)
	v_fmaak_f32 v15, v14, v15, 0xbd5c1c4e
	v_fmaak_f32 v15, v14, v15, 0x3e088382
	s_delay_alu instid0(VALU_DEP_1) | instskip(NEXT) | instid1(VALU_DEP_1)
	v_fmaak_f32 v15, v14, v15, 0xbeaaaa99
	v_mul_f32_e32 v15, v12, v15
	s_delay_alu instid0(VALU_DEP_1)
	v_fmac_f32_e32 v12, v14, v15
; %bb.11:                               ;   in Loop: Header=BB73_3 Depth=1
	s_or_b32 exec_lo, exec_lo, s0
	v_lshlrev_b32_e32 v14, 16, v2
	s_mov_b32 s8, exec_lo
	s_delay_alu instid0(VALU_DEP_1) | instskip(NEXT) | instid1(VALU_DEP_1)
	v_mul_f32_e32 v15, 0x3d372713, v14
	v_bfe_u32 v16, v15, 16, 1
	v_cmp_o_f32_e32 vcc_lo, v15, v15
	s_delay_alu instid0(VALU_DEP_2) | instskip(NEXT) | instid1(VALU_DEP_1)
	v_add3_u32 v16, v15, v16, 0x7fff
	v_and_b32_e32 v16, 0xffff0000, v16
	s_delay_alu instid0(VALU_DEP_1) | instskip(SKIP_1) | instid1(VALU_DEP_2)
	v_cndmask_b32_e32 v15, 0x7fc00000, v16, vcc_lo
	v_mul_f32_e32 v17, 0x3f4c422a, v14
	v_mul_f32_e32 v15, v15, v14
	s_delay_alu instid0(VALU_DEP_1) | instskip(SKIP_1) | instid1(VALU_DEP_2)
	v_bfe_u32 v16, v15, 16, 1
	v_cmp_o_f32_e32 vcc_lo, v15, v15
	v_add3_u32 v16, v15, v16, 0x7fff
	s_delay_alu instid0(VALU_DEP_1) | instskip(NEXT) | instid1(VALU_DEP_1)
	v_and_b32_e32 v16, 0xffff0000, v16
	v_add_f32_e32 v16, 1.0, v16
	s_delay_alu instid0(VALU_DEP_1) | instskip(SKIP_2) | instid1(VALU_DEP_3)
	v_cndmask_b32_e32 v15, 0x7fc00000, v16, vcc_lo
	v_bfe_u32 v16, v17, 16, 1
	v_cmp_o_f32_e32 vcc_lo, v17, v17
	v_bfe_u32 v18, v15, 16, 1
	s_delay_alu instid0(VALU_DEP_3) | instskip(NEXT) | instid1(VALU_DEP_2)
	v_add3_u32 v16, v17, v16, 0x7fff
	v_add3_u32 v18, v15, v18, 0x7fff
	s_delay_alu instid0(VALU_DEP_2) | instskip(NEXT) | instid1(VALU_DEP_1)
	v_and_b32_e32 v16, 0xffff0000, v16
	v_cndmask_b32_e32 v16, 0x7fc00000, v16, vcc_lo
	s_delay_alu instid0(VALU_DEP_3) | instskip(SKIP_1) | instid1(VALU_DEP_2)
	v_and_b32_e32 v18, 0xffff0000, v18
	v_cmp_o_f32_e32 vcc_lo, v15, v15
	v_cndmask_b32_e32 v15, 0x7fc00000, v18, vcc_lo
	s_delay_alu instid0(VALU_DEP_1) | instskip(NEXT) | instid1(VALU_DEP_1)
	v_mul_f32_e32 v15, v16, v15
	v_bfe_u32 v16, v15, 16, 1
	v_cmp_u_f32_e32 vcc_lo, v15, v15
	s_delay_alu instid0(VALU_DEP_2) | instskip(NEXT) | instid1(VALU_DEP_1)
	v_add3_u32 v16, v15, v16, 0x7fff
	v_and_b32_e32 v16, 0xffff0000, v16
	s_delay_alu instid0(VALU_DEP_1) | instskip(NEXT) | instid1(VALU_DEP_1)
	v_cndmask_b32_e64 v15, |v16|, 0x7fc00000, vcc_lo
	v_cmpx_ngt_f32_e32 0x3f200000, v15
	s_xor_b32 s8, exec_lo, s8
	s_cbranch_execz .LBB73_13
; %bb.12:                               ;   in Loop: Header=BB73_3 Depth=1
	v_add_f32_e32 v15, v15, v15
	s_delay_alu instid0(VALU_DEP_1) | instskip(SKIP_1) | instid1(VALU_DEP_2)
	v_mul_f32_e32 v17, 0x3fb8aa3b, v15
	v_cmp_ngt_f32_e64 s0, 0xc2ce8ed0, v15
	v_rndne_f32_e32 v18, v17
	v_fma_f32 v19, 0x3fb8aa3b, v15, -v17
	s_delay_alu instid0(VALU_DEP_2) | instskip(NEXT) | instid1(VALU_DEP_2)
	v_sub_f32_e32 v17, v17, v18
	v_fmac_f32_e32 v19, 0x32a5705f, v15
	v_cvt_i32_f32_e32 v18, v18
	s_delay_alu instid0(VALU_DEP_2) | instskip(NEXT) | instid1(VALU_DEP_1)
	v_add_f32_e32 v17, v17, v19
	v_exp_f32_e32 v17, v17
	s_waitcnt_depctr 0xfff
	v_ldexp_f32 v17, v17, v18
	s_delay_alu instid0(VALU_DEP_1) | instskip(SKIP_1) | instid1(VALU_DEP_1)
	v_cndmask_b32_e64 v17, 0, v17, s0
	v_cmp_nlt_f32_e64 s0, 0x42b17218, v15
	v_cndmask_b32_e64 v15, 0x7f800000, v17, s0
	s_delay_alu instid0(VALU_DEP_1) | instskip(NEXT) | instid1(VALU_DEP_1)
	v_add_f32_e32 v15, 1.0, v15
	v_rcp_f32_e32 v15, v15
	s_waitcnt_depctr 0xfff
	v_fma_f32 v15, v15, -2.0, 1.0
.LBB73_13:                              ;   in Loop: Header=BB73_3 Depth=1
	s_or_saveexec_b32 s0, s8
	v_cndmask_b32_e64 v16, v16, 0x7fc00000, vcc_lo
	s_xor_b32 exec_lo, exec_lo, s0
; %bb.14:                               ;   in Loop: Header=BB73_3 Depth=1
	s_delay_alu instid0(VALU_DEP_1) | instskip(NEXT) | instid1(VALU_DEP_1)
	v_mul_f32_e32 v17, v16, v16
	v_fmaak_f32 v18, s7, v17, 0x3ca908c9
	s_delay_alu instid0(VALU_DEP_1) | instskip(NEXT) | instid1(VALU_DEP_1)
	v_fmaak_f32 v18, v17, v18, 0xbd5c1c4e
	v_fmaak_f32 v18, v17, v18, 0x3e088382
	s_delay_alu instid0(VALU_DEP_1) | instskip(NEXT) | instid1(VALU_DEP_1)
	v_fmaak_f32 v18, v17, v18, 0xbeaaaa99
	v_mul_f32_e32 v18, v15, v18
	s_delay_alu instid0(VALU_DEP_1)
	v_fmac_f32_e32 v15, v17, v18
; %bb.15:                               ;   in Loop: Header=BB73_3 Depth=1
	s_or_b32 exec_lo, exec_lo, s0
	v_and_b32_e32 v2, 0xffff0000, v2
	s_mov_b32 s8, exec_lo
	s_delay_alu instid0(VALU_DEP_1) | instskip(SKIP_1) | instid1(VALU_DEP_2)
	v_mul_f32_e32 v17, 0x3d372713, v2
	v_mul_f32_e32 v19, 0x3f4c422a, v2
	v_bfe_u32 v18, v17, 16, 1
	v_cmp_o_f32_e32 vcc_lo, v17, v17
	s_delay_alu instid0(VALU_DEP_2) | instskip(NEXT) | instid1(VALU_DEP_1)
	v_add3_u32 v18, v17, v18, 0x7fff
	v_and_b32_e32 v18, 0xffff0000, v18
	s_delay_alu instid0(VALU_DEP_1) | instskip(NEXT) | instid1(VALU_DEP_1)
	v_cndmask_b32_e32 v17, 0x7fc00000, v18, vcc_lo
	v_mul_f32_e32 v17, v17, v2
	s_delay_alu instid0(VALU_DEP_1) | instskip(SKIP_1) | instid1(VALU_DEP_2)
	v_bfe_u32 v18, v17, 16, 1
	v_cmp_o_f32_e32 vcc_lo, v17, v17
	v_add3_u32 v18, v17, v18, 0x7fff
	s_delay_alu instid0(VALU_DEP_1) | instskip(NEXT) | instid1(VALU_DEP_1)
	v_and_b32_e32 v18, 0xffff0000, v18
	v_add_f32_e32 v18, 1.0, v18
	s_delay_alu instid0(VALU_DEP_1) | instskip(SKIP_2) | instid1(VALU_DEP_3)
	v_cndmask_b32_e32 v17, 0x7fc00000, v18, vcc_lo
	v_bfe_u32 v18, v19, 16, 1
	v_cmp_o_f32_e32 vcc_lo, v19, v19
	v_bfe_u32 v20, v17, 16, 1
	s_delay_alu instid0(VALU_DEP_3) | instskip(NEXT) | instid1(VALU_DEP_2)
	v_add3_u32 v18, v19, v18, 0x7fff
	v_add3_u32 v20, v17, v20, 0x7fff
	s_delay_alu instid0(VALU_DEP_2) | instskip(NEXT) | instid1(VALU_DEP_2)
	v_and_b32_e32 v18, 0xffff0000, v18
	v_and_b32_e32 v20, 0xffff0000, v20
	s_delay_alu instid0(VALU_DEP_2) | instskip(SKIP_1) | instid1(VALU_DEP_3)
	v_cndmask_b32_e32 v18, 0x7fc00000, v18, vcc_lo
	v_cmp_o_f32_e32 vcc_lo, v17, v17
	v_cndmask_b32_e32 v17, 0x7fc00000, v20, vcc_lo
	s_delay_alu instid0(VALU_DEP_1) | instskip(NEXT) | instid1(VALU_DEP_1)
	v_mul_f32_e32 v17, v18, v17
	v_bfe_u32 v18, v17, 16, 1
	v_cmp_u_f32_e32 vcc_lo, v17, v17
	s_delay_alu instid0(VALU_DEP_2) | instskip(NEXT) | instid1(VALU_DEP_1)
	v_add3_u32 v18, v17, v18, 0x7fff
	v_and_b32_e32 v18, 0xffff0000, v18
	s_delay_alu instid0(VALU_DEP_1) | instskip(NEXT) | instid1(VALU_DEP_1)
	v_cndmask_b32_e64 v17, |v18|, 0x7fc00000, vcc_lo
	v_cmpx_ngt_f32_e32 0x3f200000, v17
	s_xor_b32 s8, exec_lo, s8
	s_cbranch_execz .LBB73_17
; %bb.16:                               ;   in Loop: Header=BB73_3 Depth=1
	v_add_f32_e32 v17, v17, v17
	s_delay_alu instid0(VALU_DEP_1) | instskip(SKIP_1) | instid1(VALU_DEP_2)
	v_mul_f32_e32 v19, 0x3fb8aa3b, v17
	v_cmp_ngt_f32_e64 s0, 0xc2ce8ed0, v17
	v_rndne_f32_e32 v20, v19
	v_fma_f32 v21, 0x3fb8aa3b, v17, -v19
	s_delay_alu instid0(VALU_DEP_2) | instskip(NEXT) | instid1(VALU_DEP_2)
	v_sub_f32_e32 v19, v19, v20
	v_fmac_f32_e32 v21, 0x32a5705f, v17
	v_cvt_i32_f32_e32 v20, v20
	s_delay_alu instid0(VALU_DEP_2) | instskip(NEXT) | instid1(VALU_DEP_1)
	v_add_f32_e32 v19, v19, v21
	v_exp_f32_e32 v19, v19
	s_waitcnt_depctr 0xfff
	v_ldexp_f32 v19, v19, v20
	s_delay_alu instid0(VALU_DEP_1) | instskip(SKIP_1) | instid1(VALU_DEP_1)
	v_cndmask_b32_e64 v19, 0, v19, s0
	v_cmp_nlt_f32_e64 s0, 0x42b17218, v17
	v_cndmask_b32_e64 v17, 0x7f800000, v19, s0
	s_delay_alu instid0(VALU_DEP_1) | instskip(NEXT) | instid1(VALU_DEP_1)
	v_add_f32_e32 v17, 1.0, v17
	v_rcp_f32_e32 v17, v17
	s_waitcnt_depctr 0xfff
	v_fma_f32 v17, v17, -2.0, 1.0
.LBB73_17:                              ;   in Loop: Header=BB73_3 Depth=1
	s_or_saveexec_b32 s0, s8
	v_cndmask_b32_e64 v18, v18, 0x7fc00000, vcc_lo
	s_xor_b32 exec_lo, exec_lo, s0
; %bb.18:                               ;   in Loop: Header=BB73_3 Depth=1
	s_delay_alu instid0(VALU_DEP_1) | instskip(NEXT) | instid1(VALU_DEP_1)
	v_mul_f32_e32 v19, v18, v18
	v_fmaak_f32 v20, s7, v19, 0x3ca908c9
	s_delay_alu instid0(VALU_DEP_1) | instskip(NEXT) | instid1(VALU_DEP_1)
	v_fmaak_f32 v20, v19, v20, 0xbd5c1c4e
	v_fmaak_f32 v20, v19, v20, 0x3e088382
	s_delay_alu instid0(VALU_DEP_1) | instskip(NEXT) | instid1(VALU_DEP_1)
	v_fmaak_f32 v20, v19, v20, 0xbeaaaa99
	v_mul_f32_e32 v20, v17, v20
	s_delay_alu instid0(VALU_DEP_1)
	v_fmac_f32_e32 v17, v19, v20
; %bb.19:                               ;   in Loop: Header=BB73_3 Depth=1
	s_or_b32 exec_lo, exec_lo, s0
	v_lshlrev_b32_e32 v19, 16, v3
	s_mov_b32 s8, exec_lo
	s_delay_alu instid0(VALU_DEP_1) | instskip(NEXT) | instid1(VALU_DEP_1)
	v_mul_f32_e32 v20, 0x3d372713, v19
	v_bfe_u32 v21, v20, 16, 1
	v_cmp_o_f32_e32 vcc_lo, v20, v20
	s_delay_alu instid0(VALU_DEP_2) | instskip(NEXT) | instid1(VALU_DEP_1)
	v_add3_u32 v21, v20, v21, 0x7fff
	v_and_b32_e32 v21, 0xffff0000, v21
	s_delay_alu instid0(VALU_DEP_1) | instskip(SKIP_1) | instid1(VALU_DEP_2)
	v_cndmask_b32_e32 v20, 0x7fc00000, v21, vcc_lo
	v_mul_f32_e32 v22, 0x3f4c422a, v19
	v_mul_f32_e32 v20, v20, v19
	s_delay_alu instid0(VALU_DEP_1) | instskip(SKIP_1) | instid1(VALU_DEP_2)
	v_bfe_u32 v21, v20, 16, 1
	v_cmp_o_f32_e32 vcc_lo, v20, v20
	v_add3_u32 v21, v20, v21, 0x7fff
	s_delay_alu instid0(VALU_DEP_1) | instskip(NEXT) | instid1(VALU_DEP_1)
	v_and_b32_e32 v21, 0xffff0000, v21
	v_add_f32_e32 v21, 1.0, v21
	s_delay_alu instid0(VALU_DEP_1) | instskip(SKIP_2) | instid1(VALU_DEP_3)
	v_cndmask_b32_e32 v20, 0x7fc00000, v21, vcc_lo
	v_bfe_u32 v21, v22, 16, 1
	v_cmp_o_f32_e32 vcc_lo, v22, v22
	v_bfe_u32 v23, v20, 16, 1
	s_delay_alu instid0(VALU_DEP_3) | instskip(NEXT) | instid1(VALU_DEP_2)
	v_add3_u32 v21, v22, v21, 0x7fff
	v_add3_u32 v23, v20, v23, 0x7fff
	s_delay_alu instid0(VALU_DEP_2) | instskip(NEXT) | instid1(VALU_DEP_1)
	v_and_b32_e32 v21, 0xffff0000, v21
	v_cndmask_b32_e32 v21, 0x7fc00000, v21, vcc_lo
	s_delay_alu instid0(VALU_DEP_3) | instskip(SKIP_1) | instid1(VALU_DEP_2)
	v_and_b32_e32 v23, 0xffff0000, v23
	v_cmp_o_f32_e32 vcc_lo, v20, v20
	v_cndmask_b32_e32 v20, 0x7fc00000, v23, vcc_lo
	s_delay_alu instid0(VALU_DEP_1) | instskip(NEXT) | instid1(VALU_DEP_1)
	v_mul_f32_e32 v20, v21, v20
	v_bfe_u32 v21, v20, 16, 1
	v_cmp_u_f32_e32 vcc_lo, v20, v20
	s_delay_alu instid0(VALU_DEP_2) | instskip(NEXT) | instid1(VALU_DEP_1)
	v_add3_u32 v21, v20, v21, 0x7fff
	v_and_b32_e32 v21, 0xffff0000, v21
	s_delay_alu instid0(VALU_DEP_1) | instskip(NEXT) | instid1(VALU_DEP_1)
	v_cndmask_b32_e64 v20, |v21|, 0x7fc00000, vcc_lo
	v_cmpx_ngt_f32_e32 0x3f200000, v20
	s_xor_b32 s8, exec_lo, s8
	s_cbranch_execz .LBB73_21
; %bb.20:                               ;   in Loop: Header=BB73_3 Depth=1
	v_add_f32_e32 v20, v20, v20
	s_delay_alu instid0(VALU_DEP_1) | instskip(SKIP_1) | instid1(VALU_DEP_2)
	v_mul_f32_e32 v22, 0x3fb8aa3b, v20
	v_cmp_ngt_f32_e64 s0, 0xc2ce8ed0, v20
	v_rndne_f32_e32 v23, v22
	v_fma_f32 v24, 0x3fb8aa3b, v20, -v22
	s_delay_alu instid0(VALU_DEP_2) | instskip(NEXT) | instid1(VALU_DEP_2)
	v_sub_f32_e32 v22, v22, v23
	v_fmac_f32_e32 v24, 0x32a5705f, v20
	v_cvt_i32_f32_e32 v23, v23
	s_delay_alu instid0(VALU_DEP_2) | instskip(NEXT) | instid1(VALU_DEP_1)
	v_add_f32_e32 v22, v22, v24
	v_exp_f32_e32 v22, v22
	s_waitcnt_depctr 0xfff
	v_ldexp_f32 v22, v22, v23
	s_delay_alu instid0(VALU_DEP_1) | instskip(SKIP_1) | instid1(VALU_DEP_1)
	v_cndmask_b32_e64 v22, 0, v22, s0
	v_cmp_nlt_f32_e64 s0, 0x42b17218, v20
	v_cndmask_b32_e64 v20, 0x7f800000, v22, s0
	s_delay_alu instid0(VALU_DEP_1) | instskip(NEXT) | instid1(VALU_DEP_1)
	v_add_f32_e32 v20, 1.0, v20
	v_rcp_f32_e32 v20, v20
	s_waitcnt_depctr 0xfff
	v_fma_f32 v20, v20, -2.0, 1.0
.LBB73_21:                              ;   in Loop: Header=BB73_3 Depth=1
	s_or_saveexec_b32 s0, s8
	v_cndmask_b32_e64 v21, v21, 0x7fc00000, vcc_lo
	s_xor_b32 exec_lo, exec_lo, s0
; %bb.22:                               ;   in Loop: Header=BB73_3 Depth=1
	s_delay_alu instid0(VALU_DEP_1) | instskip(NEXT) | instid1(VALU_DEP_1)
	v_mul_f32_e32 v22, v21, v21
	v_fmaak_f32 v23, s7, v22, 0x3ca908c9
	s_delay_alu instid0(VALU_DEP_1) | instskip(NEXT) | instid1(VALU_DEP_1)
	v_fmaak_f32 v23, v22, v23, 0xbd5c1c4e
	v_fmaak_f32 v23, v22, v23, 0x3e088382
	s_delay_alu instid0(VALU_DEP_1) | instskip(NEXT) | instid1(VALU_DEP_1)
	v_fmaak_f32 v23, v22, v23, 0xbeaaaa99
	v_mul_f32_e32 v23, v20, v23
	s_delay_alu instid0(VALU_DEP_1)
	v_fmac_f32_e32 v20, v22, v23
; %bb.23:                               ;   in Loop: Header=BB73_3 Depth=1
	s_or_b32 exec_lo, exec_lo, s0
	v_and_b32_e32 v22, 0xffff0000, v3
	s_mov_b32 s8, exec_lo
	s_delay_alu instid0(VALU_DEP_1) | instskip(SKIP_1) | instid1(VALU_DEP_2)
	v_mul_f32_e32 v3, 0x3d372713, v22
	v_mul_f32_e32 v24, 0x3f4c422a, v22
	v_bfe_u32 v23, v3, 16, 1
	v_cmp_o_f32_e32 vcc_lo, v3, v3
	s_delay_alu instid0(VALU_DEP_2) | instskip(NEXT) | instid1(VALU_DEP_1)
	v_add3_u32 v23, v3, v23, 0x7fff
	v_and_b32_e32 v23, 0xffff0000, v23
	s_delay_alu instid0(VALU_DEP_1) | instskip(NEXT) | instid1(VALU_DEP_1)
	v_cndmask_b32_e32 v3, 0x7fc00000, v23, vcc_lo
	v_mul_f32_e32 v3, v3, v22
	s_delay_alu instid0(VALU_DEP_1) | instskip(SKIP_1) | instid1(VALU_DEP_2)
	v_bfe_u32 v23, v3, 16, 1
	v_cmp_o_f32_e32 vcc_lo, v3, v3
	v_add3_u32 v23, v3, v23, 0x7fff
	s_delay_alu instid0(VALU_DEP_1) | instskip(NEXT) | instid1(VALU_DEP_1)
	v_and_b32_e32 v23, 0xffff0000, v23
	v_add_f32_e32 v23, 1.0, v23
	s_delay_alu instid0(VALU_DEP_1) | instskip(SKIP_2) | instid1(VALU_DEP_3)
	v_cndmask_b32_e32 v3, 0x7fc00000, v23, vcc_lo
	v_bfe_u32 v23, v24, 16, 1
	v_cmp_o_f32_e32 vcc_lo, v24, v24
	v_bfe_u32 v25, v3, 16, 1
	s_delay_alu instid0(VALU_DEP_3) | instskip(NEXT) | instid1(VALU_DEP_2)
	v_add3_u32 v23, v24, v23, 0x7fff
	v_add3_u32 v25, v3, v25, 0x7fff
	s_delay_alu instid0(VALU_DEP_2) | instskip(NEXT) | instid1(VALU_DEP_2)
	v_and_b32_e32 v23, 0xffff0000, v23
	v_and_b32_e32 v25, 0xffff0000, v25
	s_delay_alu instid0(VALU_DEP_2) | instskip(SKIP_1) | instid1(VALU_DEP_3)
	v_cndmask_b32_e32 v23, 0x7fc00000, v23, vcc_lo
	v_cmp_o_f32_e32 vcc_lo, v3, v3
	v_cndmask_b32_e32 v3, 0x7fc00000, v25, vcc_lo
	s_delay_alu instid0(VALU_DEP_1) | instskip(NEXT) | instid1(VALU_DEP_1)
	v_mul_f32_e32 v23, v23, v3
	v_bfe_u32 v3, v23, 16, 1
	v_cmp_u_f32_e32 vcc_lo, v23, v23
	s_delay_alu instid0(VALU_DEP_2) | instskip(NEXT) | instid1(VALU_DEP_1)
	v_add3_u32 v3, v23, v3, 0x7fff
	v_and_b32_e32 v3, 0xffff0000, v3
	s_delay_alu instid0(VALU_DEP_1) | instskip(NEXT) | instid1(VALU_DEP_1)
	v_cndmask_b32_e64 v24, |v3|, 0x7fc00000, vcc_lo
	v_cmpx_ngt_f32_e32 0x3f200000, v24
	s_xor_b32 s8, exec_lo, s8
	s_cbranch_execz .LBB73_25
; %bb.24:                               ;   in Loop: Header=BB73_3 Depth=1
	v_add_f32_e32 v23, v24, v24
	s_delay_alu instid0(VALU_DEP_1) | instskip(SKIP_1) | instid1(VALU_DEP_2)
	v_mul_f32_e32 v24, 0x3fb8aa3b, v23
	v_cmp_ngt_f32_e64 s0, 0xc2ce8ed0, v23
	v_rndne_f32_e32 v25, v24
	v_fma_f32 v26, 0x3fb8aa3b, v23, -v24
	s_delay_alu instid0(VALU_DEP_2) | instskip(NEXT) | instid1(VALU_DEP_2)
	v_sub_f32_e32 v24, v24, v25
	v_fmac_f32_e32 v26, 0x32a5705f, v23
	v_cvt_i32_f32_e32 v25, v25
	s_delay_alu instid0(VALU_DEP_2) | instskip(NEXT) | instid1(VALU_DEP_1)
	v_add_f32_e32 v24, v24, v26
	v_exp_f32_e32 v24, v24
	s_waitcnt_depctr 0xfff
	v_ldexp_f32 v24, v24, v25
	s_delay_alu instid0(VALU_DEP_1) | instskip(SKIP_1) | instid1(VALU_DEP_1)
	v_cndmask_b32_e64 v24, 0, v24, s0
	v_cmp_nlt_f32_e64 s0, 0x42b17218, v23
	v_cndmask_b32_e64 v23, 0x7f800000, v24, s0
	s_delay_alu instid0(VALU_DEP_1) | instskip(NEXT) | instid1(VALU_DEP_1)
	v_add_f32_e32 v23, 1.0, v23
	v_rcp_f32_e32 v23, v23
	s_waitcnt_depctr 0xfff
	v_fma_f32 v24, v23, -2.0, 1.0
.LBB73_25:                              ;   in Loop: Header=BB73_3 Depth=1
	s_or_saveexec_b32 s0, s8
	v_cndmask_b32_e64 v25, v3, 0x7fc00000, vcc_lo
	s_xor_b32 exec_lo, exec_lo, s0
; %bb.26:                               ;   in Loop: Header=BB73_3 Depth=1
	s_delay_alu instid0(VALU_DEP_1) | instskip(NEXT) | instid1(VALU_DEP_1)
	v_mul_f32_e32 v3, v25, v25
	v_fmaak_f32 v23, s7, v3, 0x3ca908c9
	s_delay_alu instid0(VALU_DEP_1) | instskip(NEXT) | instid1(VALU_DEP_1)
	v_fmaak_f32 v23, v3, v23, 0xbd5c1c4e
	v_fmaak_f32 v23, v3, v23, 0x3e088382
	s_delay_alu instid0(VALU_DEP_1) | instskip(NEXT) | instid1(VALU_DEP_1)
	v_fmaak_f32 v23, v3, v23, 0xbeaaaa99
	v_mul_f32_e32 v23, v24, v23
	s_delay_alu instid0(VALU_DEP_1)
	v_fmac_f32_e32 v24, v3, v23
; %bb.27:                               ;   in Loop: Header=BB73_3 Depth=1
	s_or_b32 exec_lo, exec_lo, s0
	v_lshlrev_b32_e32 v26, 16, v4
	s_mov_b32 s8, exec_lo
	s_delay_alu instid0(VALU_DEP_1) | instskip(NEXT) | instid1(VALU_DEP_1)
	v_mul_f32_e32 v3, 0x3d372713, v26
	v_bfe_u32 v23, v3, 16, 1
	v_cmp_o_f32_e32 vcc_lo, v3, v3
	s_delay_alu instid0(VALU_DEP_2) | instskip(NEXT) | instid1(VALU_DEP_1)
	v_add3_u32 v23, v3, v23, 0x7fff
	v_and_b32_e32 v23, 0xffff0000, v23
	s_delay_alu instid0(VALU_DEP_1) | instskip(SKIP_1) | instid1(VALU_DEP_2)
	v_cndmask_b32_e32 v3, 0x7fc00000, v23, vcc_lo
	v_mul_f32_e32 v27, 0x3f4c422a, v26
	v_mul_f32_e32 v3, v3, v26
	s_delay_alu instid0(VALU_DEP_1) | instskip(SKIP_1) | instid1(VALU_DEP_2)
	v_bfe_u32 v23, v3, 16, 1
	v_cmp_o_f32_e32 vcc_lo, v3, v3
	v_add3_u32 v23, v3, v23, 0x7fff
	s_delay_alu instid0(VALU_DEP_1) | instskip(NEXT) | instid1(VALU_DEP_1)
	v_and_b32_e32 v23, 0xffff0000, v23
	v_add_f32_e32 v23, 1.0, v23
	s_delay_alu instid0(VALU_DEP_1) | instskip(SKIP_2) | instid1(VALU_DEP_3)
	v_cndmask_b32_e32 v3, 0x7fc00000, v23, vcc_lo
	v_bfe_u32 v23, v27, 16, 1
	v_cmp_o_f32_e32 vcc_lo, v27, v27
	v_bfe_u32 v28, v3, 16, 1
	s_delay_alu instid0(VALU_DEP_3) | instskip(NEXT) | instid1(VALU_DEP_2)
	v_add3_u32 v23, v27, v23, 0x7fff
	v_add3_u32 v28, v3, v28, 0x7fff
	s_delay_alu instid0(VALU_DEP_2) | instskip(NEXT) | instid1(VALU_DEP_2)
	v_and_b32_e32 v23, 0xffff0000, v23
	v_and_b32_e32 v28, 0xffff0000, v28
	s_delay_alu instid0(VALU_DEP_2) | instskip(SKIP_1) | instid1(VALU_DEP_3)
	v_cndmask_b32_e32 v23, 0x7fc00000, v23, vcc_lo
	v_cmp_o_f32_e32 vcc_lo, v3, v3
	v_cndmask_b32_e32 v3, 0x7fc00000, v28, vcc_lo
	s_delay_alu instid0(VALU_DEP_1) | instskip(NEXT) | instid1(VALU_DEP_1)
	v_mul_f32_e32 v23, v23, v3
	v_bfe_u32 v3, v23, 16, 1
	v_cmp_u_f32_e32 vcc_lo, v23, v23
	s_delay_alu instid0(VALU_DEP_2) | instskip(NEXT) | instid1(VALU_DEP_1)
	v_add3_u32 v3, v23, v3, 0x7fff
	v_and_b32_e32 v3, 0xffff0000, v3
	s_delay_alu instid0(VALU_DEP_1) | instskip(NEXT) | instid1(VALU_DEP_1)
	v_cndmask_b32_e64 v27, |v3|, 0x7fc00000, vcc_lo
	v_cmpx_ngt_f32_e32 0x3f200000, v27
	s_xor_b32 s8, exec_lo, s8
	s_cbranch_execz .LBB73_29
; %bb.28:                               ;   in Loop: Header=BB73_3 Depth=1
	v_add_f32_e32 v23, v27, v27
	s_delay_alu instid0(VALU_DEP_1) | instskip(SKIP_1) | instid1(VALU_DEP_2)
	v_mul_f32_e32 v27, 0x3fb8aa3b, v23
	v_cmp_ngt_f32_e64 s0, 0xc2ce8ed0, v23
	v_rndne_f32_e32 v28, v27
	v_fma_f32 v29, 0x3fb8aa3b, v23, -v27
	s_delay_alu instid0(VALU_DEP_2) | instskip(NEXT) | instid1(VALU_DEP_2)
	v_sub_f32_e32 v27, v27, v28
	v_fmac_f32_e32 v29, 0x32a5705f, v23
	v_cvt_i32_f32_e32 v28, v28
	s_delay_alu instid0(VALU_DEP_2) | instskip(NEXT) | instid1(VALU_DEP_1)
	v_add_f32_e32 v27, v27, v29
	v_exp_f32_e32 v27, v27
	s_waitcnt_depctr 0xfff
	v_ldexp_f32 v27, v27, v28
	s_delay_alu instid0(VALU_DEP_1) | instskip(SKIP_1) | instid1(VALU_DEP_1)
	v_cndmask_b32_e64 v27, 0, v27, s0
	v_cmp_nlt_f32_e64 s0, 0x42b17218, v23
	v_cndmask_b32_e64 v23, 0x7f800000, v27, s0
	s_delay_alu instid0(VALU_DEP_1) | instskip(NEXT) | instid1(VALU_DEP_1)
	v_add_f32_e32 v23, 1.0, v23
	v_rcp_f32_e32 v23, v23
	s_waitcnt_depctr 0xfff
	v_fma_f32 v27, v23, -2.0, 1.0
.LBB73_29:                              ;   in Loop: Header=BB73_3 Depth=1
	s_or_saveexec_b32 s0, s8
	v_cndmask_b32_e64 v28, v3, 0x7fc00000, vcc_lo
	s_xor_b32 exec_lo, exec_lo, s0
; %bb.30:                               ;   in Loop: Header=BB73_3 Depth=1
	s_delay_alu instid0(VALU_DEP_1) | instskip(NEXT) | instid1(VALU_DEP_1)
	v_mul_f32_e32 v3, v28, v28
	v_fmaak_f32 v23, s7, v3, 0x3ca908c9
	s_delay_alu instid0(VALU_DEP_1) | instskip(NEXT) | instid1(VALU_DEP_1)
	v_fmaak_f32 v23, v3, v23, 0xbd5c1c4e
	v_fmaak_f32 v23, v3, v23, 0x3e088382
	s_delay_alu instid0(VALU_DEP_1) | instskip(NEXT) | instid1(VALU_DEP_1)
	v_fmaak_f32 v23, v3, v23, 0xbeaaaa99
	v_mul_f32_e32 v23, v27, v23
	s_delay_alu instid0(VALU_DEP_1)
	v_fmac_f32_e32 v27, v3, v23
; %bb.31:                               ;   in Loop: Header=BB73_3 Depth=1
	s_or_b32 exec_lo, exec_lo, s0
	v_and_b32_e32 v3, 0xffff0000, v4
	s_mov_b32 s8, exec_lo
	s_delay_alu instid0(VALU_DEP_1) | instskip(SKIP_1) | instid1(VALU_DEP_2)
	v_mul_f32_e32 v4, 0x3d372713, v3
	v_mul_f32_e32 v29, 0x3f4c422a, v3
	v_bfe_u32 v23, v4, 16, 1
	v_cmp_o_f32_e32 vcc_lo, v4, v4
	s_delay_alu instid0(VALU_DEP_2) | instskip(NEXT) | instid1(VALU_DEP_1)
	v_add3_u32 v23, v4, v23, 0x7fff
	v_and_b32_e32 v23, 0xffff0000, v23
	s_delay_alu instid0(VALU_DEP_1) | instskip(NEXT) | instid1(VALU_DEP_1)
	v_cndmask_b32_e32 v4, 0x7fc00000, v23, vcc_lo
	v_mul_f32_e32 v4, v4, v3
	s_delay_alu instid0(VALU_DEP_1) | instskip(SKIP_1) | instid1(VALU_DEP_2)
	v_bfe_u32 v23, v4, 16, 1
	v_cmp_o_f32_e32 vcc_lo, v4, v4
	v_add3_u32 v23, v4, v23, 0x7fff
	s_delay_alu instid0(VALU_DEP_1) | instskip(NEXT) | instid1(VALU_DEP_1)
	v_and_b32_e32 v23, 0xffff0000, v23
	v_add_f32_e32 v23, 1.0, v23
	s_delay_alu instid0(VALU_DEP_1) | instskip(SKIP_2) | instid1(VALU_DEP_3)
	v_cndmask_b32_e32 v4, 0x7fc00000, v23, vcc_lo
	v_bfe_u32 v23, v29, 16, 1
	v_cmp_o_f32_e32 vcc_lo, v29, v29
	v_bfe_u32 v30, v4, 16, 1
	s_delay_alu instid0(VALU_DEP_3) | instskip(NEXT) | instid1(VALU_DEP_2)
	v_add3_u32 v23, v29, v23, 0x7fff
	v_add3_u32 v30, v4, v30, 0x7fff
	s_delay_alu instid0(VALU_DEP_2) | instskip(NEXT) | instid1(VALU_DEP_2)
	v_and_b32_e32 v23, 0xffff0000, v23
	v_and_b32_e32 v30, 0xffff0000, v30
	s_delay_alu instid0(VALU_DEP_2) | instskip(SKIP_1) | instid1(VALU_DEP_3)
	v_cndmask_b32_e32 v23, 0x7fc00000, v23, vcc_lo
	v_cmp_o_f32_e32 vcc_lo, v4, v4
	v_cndmask_b32_e32 v4, 0x7fc00000, v30, vcc_lo
	s_delay_alu instid0(VALU_DEP_1) | instskip(NEXT) | instid1(VALU_DEP_1)
	v_mul_f32_e32 v4, v23, v4
	v_bfe_u32 v23, v4, 16, 1
	v_cmp_u_f32_e32 vcc_lo, v4, v4
	s_delay_alu instid0(VALU_DEP_2) | instskip(NEXT) | instid1(VALU_DEP_1)
	v_add3_u32 v23, v4, v23, 0x7fff
	v_and_b32_e32 v23, 0xffff0000, v23
	s_delay_alu instid0(VALU_DEP_1) | instskip(NEXT) | instid1(VALU_DEP_1)
	v_cndmask_b32_e64 v4, |v23|, 0x7fc00000, vcc_lo
	v_cmpx_ngt_f32_e32 0x3f200000, v4
	s_xor_b32 s8, exec_lo, s8
	s_cbranch_execz .LBB73_33
; %bb.32:                               ;   in Loop: Header=BB73_3 Depth=1
	v_add_f32_e32 v4, v4, v4
	s_delay_alu instid0(VALU_DEP_1) | instskip(NEXT) | instid1(VALU_DEP_1)
	v_mul_f32_e32 v29, 0x3fb8aa3b, v4
	v_rndne_f32_e32 v30, v29
	v_fma_f32 v31, 0x3fb8aa3b, v4, -v29
	s_delay_alu instid0(VALU_DEP_2) | instskip(NEXT) | instid1(VALU_DEP_2)
	v_sub_f32_e32 v29, v29, v30
	v_fmac_f32_e32 v31, 0x32a5705f, v4
	v_cvt_i32_f32_e32 v30, v30
	v_cmp_ngt_f32_e64 s0, 0xc2ce8ed0, v4
	s_delay_alu instid0(VALU_DEP_3) | instskip(NEXT) | instid1(VALU_DEP_1)
	v_add_f32_e32 v29, v29, v31
	v_exp_f32_e32 v29, v29
	s_waitcnt_depctr 0xfff
	v_ldexp_f32 v29, v29, v30
	s_delay_alu instid0(VALU_DEP_1) | instskip(SKIP_1) | instid1(VALU_DEP_1)
	v_cndmask_b32_e64 v29, 0, v29, s0
	v_cmp_nlt_f32_e64 s0, 0x42b17218, v4
	v_cndmask_b32_e64 v4, 0x7f800000, v29, s0
	s_delay_alu instid0(VALU_DEP_1) | instskip(NEXT) | instid1(VALU_DEP_1)
	v_add_f32_e32 v4, 1.0, v4
	v_rcp_f32_e32 v4, v4
	s_waitcnt_depctr 0xfff
	v_fma_f32 v4, v4, -2.0, 1.0
.LBB73_33:                              ;   in Loop: Header=BB73_3 Depth=1
	s_or_saveexec_b32 s0, s8
	v_cndmask_b32_e64 v23, v23, 0x7fc00000, vcc_lo
	s_xor_b32 exec_lo, exec_lo, s0
	s_cbranch_execz .LBB73_2
; %bb.34:                               ;   in Loop: Header=BB73_3 Depth=1
	s_delay_alu instid0(VALU_DEP_1) | instskip(NEXT) | instid1(VALU_DEP_1)
	v_mul_f32_e32 v29, v23, v23
	v_fmaak_f32 v30, s7, v29, 0x3ca908c9
	s_delay_alu instid0(VALU_DEP_1) | instskip(NEXT) | instid1(VALU_DEP_1)
	v_fmaak_f32 v30, v29, v30, 0xbd5c1c4e
	v_fmaak_f32 v30, v29, v30, 0x3e088382
	s_delay_alu instid0(VALU_DEP_1) | instskip(NEXT) | instid1(VALU_DEP_1)
	v_fmaak_f32 v30, v29, v30, 0xbeaaaa99
	v_mul_f32_e32 v30, v4, v30
	s_delay_alu instid0(VALU_DEP_1)
	v_fmac_f32_e32 v4, v29, v30
	s_branch .LBB73_2
.LBB73_35:
	s_nop 0
	s_sendmsg sendmsg(MSG_DEALLOC_VGPRS)
	s_endpgm
	.section	.rodata,"a",@progbits
	.p2align	6, 0x0
	.amdhsa_kernel _ZN4vllm17activation_kernelIN3c108BFloat16ETnPFT_RKS3_EXadL_ZNS_16gelu_fast_kernelIS2_EES3_S5_EELb1ELb0EEEvPS3_PS4_i
		.amdhsa_group_segment_fixed_size 0
		.amdhsa_private_segment_fixed_size 0
		.amdhsa_kernarg_size 280
		.amdhsa_user_sgpr_count 15
		.amdhsa_user_sgpr_dispatch_ptr 0
		.amdhsa_user_sgpr_queue_ptr 0
		.amdhsa_user_sgpr_kernarg_segment_ptr 1
		.amdhsa_user_sgpr_dispatch_id 0
		.amdhsa_user_sgpr_private_segment_size 0
		.amdhsa_wavefront_size32 1
		.amdhsa_uses_dynamic_stack 0
		.amdhsa_enable_private_segment 0
		.amdhsa_system_sgpr_workgroup_id_x 1
		.amdhsa_system_sgpr_workgroup_id_y 0
		.amdhsa_system_sgpr_workgroup_id_z 0
		.amdhsa_system_sgpr_workgroup_info 0
		.amdhsa_system_vgpr_workitem_id 0
		.amdhsa_next_free_vgpr 32
		.amdhsa_next_free_sgpr 16
		.amdhsa_reserve_vcc 1
		.amdhsa_float_round_mode_32 0
		.amdhsa_float_round_mode_16_64 0
		.amdhsa_float_denorm_mode_32 3
		.amdhsa_float_denorm_mode_16_64 3
		.amdhsa_dx10_clamp 1
		.amdhsa_ieee_mode 1
		.amdhsa_fp16_overflow 0
		.amdhsa_workgroup_processor_mode 1
		.amdhsa_memory_ordered 1
		.amdhsa_forward_progress 0
		.amdhsa_shared_vgpr_count 0
		.amdhsa_exception_fp_ieee_invalid_op 0
		.amdhsa_exception_fp_denorm_src 0
		.amdhsa_exception_fp_ieee_div_zero 0
		.amdhsa_exception_fp_ieee_overflow 0
		.amdhsa_exception_fp_ieee_underflow 0
		.amdhsa_exception_fp_ieee_inexact 0
		.amdhsa_exception_int_div_zero 0
	.end_amdhsa_kernel
	.section	.text._ZN4vllm17activation_kernelIN3c108BFloat16ETnPFT_RKS3_EXadL_ZNS_16gelu_fast_kernelIS2_EES3_S5_EELb1ELb0EEEvPS3_PS4_i,"axG",@progbits,_ZN4vllm17activation_kernelIN3c108BFloat16ETnPFT_RKS3_EXadL_ZNS_16gelu_fast_kernelIS2_EES3_S5_EELb1ELb0EEEvPS3_PS4_i,comdat
.Lfunc_end73:
	.size	_ZN4vllm17activation_kernelIN3c108BFloat16ETnPFT_RKS3_EXadL_ZNS_16gelu_fast_kernelIS2_EES3_S5_EELb1ELb0EEEvPS3_PS4_i, .Lfunc_end73-_ZN4vllm17activation_kernelIN3c108BFloat16ETnPFT_RKS3_EXadL_ZNS_16gelu_fast_kernelIS2_EES3_S5_EELb1ELb0EEEvPS3_PS4_i
                                        ; -- End function
	.section	.AMDGPU.csdata,"",@progbits
; Kernel info:
; codeLenInByte = 6156
; NumSgprs: 18
; NumVgprs: 32
; ScratchSize: 0
; MemoryBound: 0
; FloatMode: 240
; IeeeMode: 1
; LDSByteSize: 0 bytes/workgroup (compile time only)
; SGPRBlocks: 2
; VGPRBlocks: 3
; NumSGPRsForWavesPerEU: 18
; NumVGPRsForWavesPerEU: 32
; Occupancy: 16
; WaveLimiterHint : 0
; COMPUTE_PGM_RSRC2:SCRATCH_EN: 0
; COMPUTE_PGM_RSRC2:USER_SGPR: 15
; COMPUTE_PGM_RSRC2:TRAP_HANDLER: 0
; COMPUTE_PGM_RSRC2:TGID_X_EN: 1
; COMPUTE_PGM_RSRC2:TGID_Y_EN: 0
; COMPUTE_PGM_RSRC2:TGID_Z_EN: 0
; COMPUTE_PGM_RSRC2:TIDIG_COMP_CNT: 0
	.section	.text._ZN4vllm17activation_kernelIfTnPFT_RKS1_EXadL_ZNS_16gelu_fast_kernelIfEES1_S3_EELb0ELb0EEEvPS1_PS2_i,"axG",@progbits,_ZN4vllm17activation_kernelIfTnPFT_RKS1_EXadL_ZNS_16gelu_fast_kernelIfEES1_S3_EELb0ELb0EEEvPS1_PS2_i,comdat
	.protected	_ZN4vllm17activation_kernelIfTnPFT_RKS1_EXadL_ZNS_16gelu_fast_kernelIfEES1_S3_EELb0ELb0EEEvPS1_PS2_i ; -- Begin function _ZN4vllm17activation_kernelIfTnPFT_RKS1_EXadL_ZNS_16gelu_fast_kernelIfEES1_S3_EELb0ELb0EEEvPS1_PS2_i
	.globl	_ZN4vllm17activation_kernelIfTnPFT_RKS1_EXadL_ZNS_16gelu_fast_kernelIfEES1_S3_EELb0ELb0EEEvPS1_PS2_i
	.p2align	8
	.type	_ZN4vllm17activation_kernelIfTnPFT_RKS1_EXadL_ZNS_16gelu_fast_kernelIfEES1_S3_EELb0ELb0EEEvPS1_PS2_i,@function
_ZN4vllm17activation_kernelIfTnPFT_RKS1_EXadL_ZNS_16gelu_fast_kernelIfEES1_S3_EELb0ELb0EEEvPS1_PS2_i: ; @_ZN4vllm17activation_kernelIfTnPFT_RKS1_EXadL_ZNS_16gelu_fast_kernelIfEES1_S3_EELb0ELb0EEEvPS1_PS2_i
; %bb.0:
	s_load_b32 s2, s[0:1], 0x10
	s_mov_b32 s3, exec_lo
	s_waitcnt lgkmcnt(0)
	v_cmpx_gt_i32_e64 s2, v0
	s_cbranch_execz .LBB74_7
; %bb.1:
	s_clause 0x1
	s_load_b32 s3, s[0:1], 0x24
	s_load_b128 s[4:7], s[0:1], 0x0
	v_dual_mov_b32 v1, 0 :: v_dual_lshlrev_b32 v2, 2, v0
	s_mul_i32 s0, s15, s2
	s_mov_b32 s1, 0
	s_mov_b32 s10, 0xbbbac73d
	s_lshl_b64 s[8:9], s[0:1], 2
	s_delay_alu instid0(SALU_CYCLE_1) | instskip(NEXT) | instid1(VALU_DEP_1)
	v_add_co_u32 v2, s0, v2, s8
	v_add_co_ci_u32_e64 v3, null, 0, s9, s0
	s_waitcnt lgkmcnt(0)
	s_and_b32 s8, s3, 0xffff
	s_ashr_i32 s3, s2, 31
	s_lshl_b32 s9, s8, 2
	s_branch .LBB74_3
.LBB74_2:                               ;   in Loop: Header=BB74_3 Depth=1
	s_or_b32 exec_lo, exec_lo, s0
	s_waitcnt_depctr 0xfff
	v_bfi_b32 v5, 0x7fffffff, v6, v5
	v_mul_f32_e32 v4, 0.5, v4
	v_add_co_u32 v0, vcc_lo, v0, s8
	v_add_co_ci_u32_e32 v1, vcc_lo, 0, v1, vcc_lo
	s_delay_alu instid0(VALU_DEP_4) | instskip(NEXT) | instid1(VALU_DEP_1)
	v_add_f32_e32 v5, 1.0, v5
	v_mul_f32_e32 v6, v4, v5
	v_add_co_u32 v4, vcc_lo, s4, v2
	v_add_co_ci_u32_e32 v5, vcc_lo, s5, v3, vcc_lo
	v_cmp_le_i64_e32 vcc_lo, s[2:3], v[0:1]
	v_add_co_u32 v2, s0, v2, s9
	s_delay_alu instid0(VALU_DEP_1) | instskip(SKIP_2) | instid1(SALU_CYCLE_1)
	v_add_co_ci_u32_e64 v3, s0, 0, v3, s0
	global_store_b32 v[4:5], v6, off
	s_or_b32 s1, vcc_lo, s1
	s_and_not1_b32 exec_lo, exec_lo, s1
	s_cbranch_execz .LBB74_7
.LBB74_3:                               ; =>This Inner Loop Header: Depth=1
	v_add_co_u32 v4, vcc_lo, s6, v2
	v_add_co_ci_u32_e32 v5, vcc_lo, s7, v3, vcc_lo
	global_load_b32 v4, v[4:5], off
	s_waitcnt vmcnt(0)
	v_mul_f32_e32 v5, 0x3d372713, v4
	v_mul_f32_e32 v6, 0x3f4c422a, v4
	s_delay_alu instid0(VALU_DEP_2) | instskip(NEXT) | instid1(VALU_DEP_1)
	v_fma_f32 v5, v4, v5, 1.0
	v_mul_f32_e32 v5, v6, v5
                                        ; implicit-def: $vgpr6
	s_delay_alu instid0(VALU_DEP_1) | instskip(NEXT) | instid1(VALU_DEP_1)
	v_cmp_ngt_f32_e64 s0, 0x3f200000, |v5|
	s_and_saveexec_b32 s11, s0
	s_delay_alu instid0(SALU_CYCLE_1)
	s_xor_b32 s0, exec_lo, s11
	s_cbranch_execz .LBB74_5
; %bb.4:                                ;   in Loop: Header=BB74_3 Depth=1
	v_add_f32_e64 v6, |v5|, |v5|
	s_delay_alu instid0(VALU_DEP_1) | instskip(SKIP_1) | instid1(VALU_DEP_2)
	v_mul_f32_e32 v7, 0x3fb8aa3b, v6
	v_cmp_ngt_f32_e32 vcc_lo, 0xc2ce8ed0, v6
	v_rndne_f32_e32 v8, v7
	v_fma_f32 v9, 0x3fb8aa3b, v6, -v7
	s_delay_alu instid0(VALU_DEP_2) | instskip(NEXT) | instid1(VALU_DEP_2)
	v_sub_f32_e32 v7, v7, v8
	v_fmac_f32_e32 v9, 0x32a5705f, v6
	v_cvt_i32_f32_e32 v8, v8
	s_delay_alu instid0(VALU_DEP_2) | instskip(NEXT) | instid1(VALU_DEP_1)
	v_add_f32_e32 v7, v7, v9
	v_exp_f32_e32 v7, v7
	s_waitcnt_depctr 0xfff
	v_ldexp_f32 v7, v7, v8
	s_delay_alu instid0(VALU_DEP_1) | instskip(SKIP_1) | instid1(VALU_DEP_2)
	v_cndmask_b32_e32 v7, 0, v7, vcc_lo
	v_cmp_nlt_f32_e32 vcc_lo, 0x42b17218, v6
	v_cndmask_b32_e32 v6, 0x7f800000, v7, vcc_lo
	s_delay_alu instid0(VALU_DEP_1) | instskip(NEXT) | instid1(VALU_DEP_1)
	v_add_f32_e32 v6, 1.0, v6
	v_rcp_f32_e32 v6, v6
	s_waitcnt_depctr 0xfff
	v_fma_f32 v6, v6, -2.0, 1.0
.LBB74_5:                               ;   in Loop: Header=BB74_3 Depth=1
	s_and_not1_saveexec_b32 s0, s0
	s_cbranch_execz .LBB74_2
; %bb.6:                                ;   in Loop: Header=BB74_3 Depth=1
	v_mul_f32_e32 v6, v5, v5
	s_delay_alu instid0(VALU_DEP_1) | instskip(NEXT) | instid1(VALU_DEP_1)
	v_fmaak_f32 v7, s10, v6, 0x3ca908c9
	v_fmaak_f32 v7, v6, v7, 0xbd5c1c4e
	s_delay_alu instid0(VALU_DEP_1) | instskip(NEXT) | instid1(VALU_DEP_1)
	v_fmaak_f32 v7, v6, v7, 0x3e088382
	v_fmaak_f32 v7, v6, v7, 0xbeaaaa99
	s_delay_alu instid0(VALU_DEP_1) | instskip(NEXT) | instid1(VALU_DEP_1)
	v_mul_f32_e64 v7, |v5|, v7
	v_fma_f32 v6, v6, v7, |v5|
	s_branch .LBB74_2
.LBB74_7:
	s_nop 0
	s_sendmsg sendmsg(MSG_DEALLOC_VGPRS)
	s_endpgm
	.section	.rodata,"a",@progbits
	.p2align	6, 0x0
	.amdhsa_kernel _ZN4vllm17activation_kernelIfTnPFT_RKS1_EXadL_ZNS_16gelu_fast_kernelIfEES1_S3_EELb0ELb0EEEvPS1_PS2_i
		.amdhsa_group_segment_fixed_size 0
		.amdhsa_private_segment_fixed_size 0
		.amdhsa_kernarg_size 280
		.amdhsa_user_sgpr_count 15
		.amdhsa_user_sgpr_dispatch_ptr 0
		.amdhsa_user_sgpr_queue_ptr 0
		.amdhsa_user_sgpr_kernarg_segment_ptr 1
		.amdhsa_user_sgpr_dispatch_id 0
		.amdhsa_user_sgpr_private_segment_size 0
		.amdhsa_wavefront_size32 1
		.amdhsa_uses_dynamic_stack 0
		.amdhsa_enable_private_segment 0
		.amdhsa_system_sgpr_workgroup_id_x 1
		.amdhsa_system_sgpr_workgroup_id_y 0
		.amdhsa_system_sgpr_workgroup_id_z 0
		.amdhsa_system_sgpr_workgroup_info 0
		.amdhsa_system_vgpr_workitem_id 0
		.amdhsa_next_free_vgpr 10
		.amdhsa_next_free_sgpr 16
		.amdhsa_reserve_vcc 1
		.amdhsa_float_round_mode_32 0
		.amdhsa_float_round_mode_16_64 0
		.amdhsa_float_denorm_mode_32 3
		.amdhsa_float_denorm_mode_16_64 3
		.amdhsa_dx10_clamp 1
		.amdhsa_ieee_mode 1
		.amdhsa_fp16_overflow 0
		.amdhsa_workgroup_processor_mode 1
		.amdhsa_memory_ordered 1
		.amdhsa_forward_progress 0
		.amdhsa_shared_vgpr_count 0
		.amdhsa_exception_fp_ieee_invalid_op 0
		.amdhsa_exception_fp_denorm_src 0
		.amdhsa_exception_fp_ieee_div_zero 0
		.amdhsa_exception_fp_ieee_overflow 0
		.amdhsa_exception_fp_ieee_underflow 0
		.amdhsa_exception_fp_ieee_inexact 0
		.amdhsa_exception_int_div_zero 0
	.end_amdhsa_kernel
	.section	.text._ZN4vllm17activation_kernelIfTnPFT_RKS1_EXadL_ZNS_16gelu_fast_kernelIfEES1_S3_EELb0ELb0EEEvPS1_PS2_i,"axG",@progbits,_ZN4vllm17activation_kernelIfTnPFT_RKS1_EXadL_ZNS_16gelu_fast_kernelIfEES1_S3_EELb0ELb0EEEvPS1_PS2_i,comdat
.Lfunc_end74:
	.size	_ZN4vllm17activation_kernelIfTnPFT_RKS1_EXadL_ZNS_16gelu_fast_kernelIfEES1_S3_EELb0ELb0EEEvPS1_PS2_i, .Lfunc_end74-_ZN4vllm17activation_kernelIfTnPFT_RKS1_EXadL_ZNS_16gelu_fast_kernelIfEES1_S3_EELb0ELb0EEEvPS1_PS2_i
                                        ; -- End function
	.section	.AMDGPU.csdata,"",@progbits
; Kernel info:
; codeLenInByte = 536
; NumSgprs: 18
; NumVgprs: 10
; ScratchSize: 0
; MemoryBound: 0
; FloatMode: 240
; IeeeMode: 1
; LDSByteSize: 0 bytes/workgroup (compile time only)
; SGPRBlocks: 2
; VGPRBlocks: 1
; NumSGPRsForWavesPerEU: 18
; NumVGPRsForWavesPerEU: 10
; Occupancy: 16
; WaveLimiterHint : 0
; COMPUTE_PGM_RSRC2:SCRATCH_EN: 0
; COMPUTE_PGM_RSRC2:USER_SGPR: 15
; COMPUTE_PGM_RSRC2:TRAP_HANDLER: 0
; COMPUTE_PGM_RSRC2:TGID_X_EN: 1
; COMPUTE_PGM_RSRC2:TGID_Y_EN: 0
; COMPUTE_PGM_RSRC2:TGID_Z_EN: 0
; COMPUTE_PGM_RSRC2:TIDIG_COMP_CNT: 0
	.section	.text._ZN4vllm17activation_kernelIN3c104HalfETnPFT_RKS3_EXadL_ZNS_16gelu_fast_kernelIS2_EES3_S5_EELb0ELb0EEEvPS3_PS4_i,"axG",@progbits,_ZN4vllm17activation_kernelIN3c104HalfETnPFT_RKS3_EXadL_ZNS_16gelu_fast_kernelIS2_EES3_S5_EELb0ELb0EEEvPS3_PS4_i,comdat
	.protected	_ZN4vllm17activation_kernelIN3c104HalfETnPFT_RKS3_EXadL_ZNS_16gelu_fast_kernelIS2_EES3_S5_EELb0ELb0EEEvPS3_PS4_i ; -- Begin function _ZN4vllm17activation_kernelIN3c104HalfETnPFT_RKS3_EXadL_ZNS_16gelu_fast_kernelIS2_EES3_S5_EELb0ELb0EEEvPS3_PS4_i
	.globl	_ZN4vllm17activation_kernelIN3c104HalfETnPFT_RKS3_EXadL_ZNS_16gelu_fast_kernelIS2_EES3_S5_EELb0ELb0EEEvPS3_PS4_i
	.p2align	8
	.type	_ZN4vllm17activation_kernelIN3c104HalfETnPFT_RKS3_EXadL_ZNS_16gelu_fast_kernelIS2_EES3_S5_EELb0ELb0EEEvPS3_PS4_i,@function
_ZN4vllm17activation_kernelIN3c104HalfETnPFT_RKS3_EXadL_ZNS_16gelu_fast_kernelIS2_EES3_S5_EELb0ELb0EEEvPS3_PS4_i: ; @_ZN4vllm17activation_kernelIN3c104HalfETnPFT_RKS3_EXadL_ZNS_16gelu_fast_kernelIS2_EES3_S5_EELb0ELb0EEEvPS3_PS4_i
; %bb.0:
	s_load_b32 s2, s[0:1], 0x10
	s_mov_b32 s3, exec_lo
	s_waitcnt lgkmcnt(0)
	v_cmpx_gt_i32_e64 s2, v0
	s_cbranch_execz .LBB75_7
; %bb.1:
	s_clause 0x1
	s_load_b32 s9, s[0:1], 0x24
	s_load_b128 s[4:7], s[0:1], 0x0
	v_dual_mov_b32 v1, 0 :: v_dual_lshlrev_b32 v2, 1, v0
	s_mul_i32 s0, s15, s2
	s_mov_b32 s1, 0
	s_ashr_i32 s3, s2, 31
	s_lshl_b64 s[10:11], s[0:1], 1
	s_mov_b32 s8, 0x3f4c422a
	v_add_co_u32 v2, s0, v2, s10
	s_delay_alu instid0(VALU_DEP_1) | instskip(SKIP_4) | instid1(SALU_CYCLE_1)
	v_add_co_ci_u32_e64 v3, null, 0, s11, s0
	s_mov_b32 s10, 0x3d372713
	s_mov_b32 s12, 0xbbbac73d
	s_waitcnt lgkmcnt(0)
	s_and_b32 s9, s9, 0xffff
	s_lshl_b32 s11, s9, 1
	s_branch .LBB75_3
.LBB75_2:                               ;   in Loop: Header=BB75_3 Depth=1
	s_or_b32 exec_lo, exec_lo, s0
	s_waitcnt_depctr 0xfff
	v_cvt_f16_f32_e32 v6, v6
	v_lshrrev_b32_e32 v5, 16, v5
	v_mul_f16_e32 v7, 0.5, v4
	v_add_co_u32 v0, vcc_lo, v0, s9
	v_add_co_ci_u32_e32 v1, vcc_lo, 0, v1, vcc_lo
	s_delay_alu instid0(VALU_DEP_4) | instskip(NEXT) | instid1(VALU_DEP_1)
	v_bfi_b32 v4, 0x7fff, v6, v5
	v_add_f16_e32 v6, 1.0, v4
	v_add_co_u32 v4, vcc_lo, s4, v2
	v_add_co_ci_u32_e32 v5, vcc_lo, s5, v3, vcc_lo
	v_cmp_le_i64_e32 vcc_lo, s[2:3], v[0:1]
	v_add_co_u32 v2, s0, v2, s11
	v_mul_f16_e32 v6, v7, v6
	v_add_co_ci_u32_e64 v3, s0, 0, v3, s0
	s_or_b32 s1, vcc_lo, s1
	global_store_b16 v[4:5], v6, off
	s_and_not1_b32 exec_lo, exec_lo, s1
	s_cbranch_execz .LBB75_7
.LBB75_3:                               ; =>This Inner Loop Header: Depth=1
	v_add_co_u32 v4, vcc_lo, s6, v2
	v_add_co_ci_u32_e32 v5, vcc_lo, s7, v3, vcc_lo
	global_load_u16 v4, v[4:5], off
	s_waitcnt vmcnt(0)
	v_fma_mixlo_f16 v5, v4, s10, 0 op_sel_hi:[1,0,0]
	v_fma_mixlo_f16 v6, v4, s8, 0 op_sel_hi:[1,0,0]
	s_delay_alu instid0(VALU_DEP_2) | instskip(NEXT) | instid1(VALU_DEP_1)
	v_fma_f16 v5, v4, v5, 1.0
	v_mul_f16_e32 v5, v5, v6
                                        ; implicit-def: $vgpr6
	s_delay_alu instid0(VALU_DEP_1) | instskip(NEXT) | instid1(VALU_DEP_1)
	v_cvt_f32_f16_e32 v5, v5
	v_cmp_ngt_f32_e64 s0, 0x3f200000, |v5|
	s_delay_alu instid0(VALU_DEP_1) | instskip(NEXT) | instid1(SALU_CYCLE_1)
	s_and_saveexec_b32 s13, s0
	s_xor_b32 s0, exec_lo, s13
	s_cbranch_execz .LBB75_5
; %bb.4:                                ;   in Loop: Header=BB75_3 Depth=1
	v_add_f32_e64 v6, |v5|, |v5|
	s_delay_alu instid0(VALU_DEP_1) | instskip(SKIP_1) | instid1(VALU_DEP_2)
	v_mul_f32_e32 v7, 0x3fb8aa3b, v6
	v_cmp_ngt_f32_e32 vcc_lo, 0xc2ce8ed0, v6
	v_rndne_f32_e32 v8, v7
	v_fma_f32 v9, 0x3fb8aa3b, v6, -v7
	s_delay_alu instid0(VALU_DEP_2) | instskip(NEXT) | instid1(VALU_DEP_2)
	v_sub_f32_e32 v7, v7, v8
	v_fmac_f32_e32 v9, 0x32a5705f, v6
	v_cvt_i32_f32_e32 v8, v8
	s_delay_alu instid0(VALU_DEP_2) | instskip(NEXT) | instid1(VALU_DEP_1)
	v_add_f32_e32 v7, v7, v9
	v_exp_f32_e32 v7, v7
	s_waitcnt_depctr 0xfff
	v_ldexp_f32 v7, v7, v8
	s_delay_alu instid0(VALU_DEP_1) | instskip(SKIP_1) | instid1(VALU_DEP_2)
	v_cndmask_b32_e32 v7, 0, v7, vcc_lo
	v_cmp_nlt_f32_e32 vcc_lo, 0x42b17218, v6
	v_cndmask_b32_e32 v6, 0x7f800000, v7, vcc_lo
	s_delay_alu instid0(VALU_DEP_1) | instskip(NEXT) | instid1(VALU_DEP_1)
	v_add_f32_e32 v6, 1.0, v6
	v_rcp_f32_e32 v6, v6
	s_waitcnt_depctr 0xfff
	v_fma_f32 v6, v6, -2.0, 1.0
.LBB75_5:                               ;   in Loop: Header=BB75_3 Depth=1
	s_and_not1_saveexec_b32 s0, s0
	s_cbranch_execz .LBB75_2
; %bb.6:                                ;   in Loop: Header=BB75_3 Depth=1
	v_mul_f32_e32 v6, v5, v5
	s_delay_alu instid0(VALU_DEP_1) | instskip(NEXT) | instid1(VALU_DEP_1)
	v_fmaak_f32 v7, s12, v6, 0x3ca908c9
	v_fmaak_f32 v7, v6, v7, 0xbd5c1c4e
	s_delay_alu instid0(VALU_DEP_1) | instskip(NEXT) | instid1(VALU_DEP_1)
	v_fmaak_f32 v7, v6, v7, 0x3e088382
	v_fmaak_f32 v7, v6, v7, 0xbeaaaa99
	s_delay_alu instid0(VALU_DEP_1) | instskip(NEXT) | instid1(VALU_DEP_1)
	v_mul_f32_e64 v7, |v5|, v7
	v_fma_f32 v6, v6, v7, |v5|
	s_branch .LBB75_2
.LBB75_7:
	s_nop 0
	s_sendmsg sendmsg(MSG_DEALLOC_VGPRS)
	s_endpgm
	.section	.rodata,"a",@progbits
	.p2align	6, 0x0
	.amdhsa_kernel _ZN4vllm17activation_kernelIN3c104HalfETnPFT_RKS3_EXadL_ZNS_16gelu_fast_kernelIS2_EES3_S5_EELb0ELb0EEEvPS3_PS4_i
		.amdhsa_group_segment_fixed_size 0
		.amdhsa_private_segment_fixed_size 0
		.amdhsa_kernarg_size 280
		.amdhsa_user_sgpr_count 15
		.amdhsa_user_sgpr_dispatch_ptr 0
		.amdhsa_user_sgpr_queue_ptr 0
		.amdhsa_user_sgpr_kernarg_segment_ptr 1
		.amdhsa_user_sgpr_dispatch_id 0
		.amdhsa_user_sgpr_private_segment_size 0
		.amdhsa_wavefront_size32 1
		.amdhsa_uses_dynamic_stack 0
		.amdhsa_enable_private_segment 0
		.amdhsa_system_sgpr_workgroup_id_x 1
		.amdhsa_system_sgpr_workgroup_id_y 0
		.amdhsa_system_sgpr_workgroup_id_z 0
		.amdhsa_system_sgpr_workgroup_info 0
		.amdhsa_system_vgpr_workitem_id 0
		.amdhsa_next_free_vgpr 10
		.amdhsa_next_free_sgpr 16
		.amdhsa_reserve_vcc 1
		.amdhsa_float_round_mode_32 0
		.amdhsa_float_round_mode_16_64 0
		.amdhsa_float_denorm_mode_32 3
		.amdhsa_float_denorm_mode_16_64 3
		.amdhsa_dx10_clamp 1
		.amdhsa_ieee_mode 1
		.amdhsa_fp16_overflow 0
		.amdhsa_workgroup_processor_mode 1
		.amdhsa_memory_ordered 1
		.amdhsa_forward_progress 0
		.amdhsa_shared_vgpr_count 0
		.amdhsa_exception_fp_ieee_invalid_op 0
		.amdhsa_exception_fp_denorm_src 0
		.amdhsa_exception_fp_ieee_div_zero 0
		.amdhsa_exception_fp_ieee_overflow 0
		.amdhsa_exception_fp_ieee_underflow 0
		.amdhsa_exception_fp_ieee_inexact 0
		.amdhsa_exception_int_div_zero 0
	.end_amdhsa_kernel
	.section	.text._ZN4vllm17activation_kernelIN3c104HalfETnPFT_RKS3_EXadL_ZNS_16gelu_fast_kernelIS2_EES3_S5_EELb0ELb0EEEvPS3_PS4_i,"axG",@progbits,_ZN4vllm17activation_kernelIN3c104HalfETnPFT_RKS3_EXadL_ZNS_16gelu_fast_kernelIS2_EES3_S5_EELb0ELb0EEEvPS3_PS4_i,comdat
.Lfunc_end75:
	.size	_ZN4vllm17activation_kernelIN3c104HalfETnPFT_RKS3_EXadL_ZNS_16gelu_fast_kernelIS2_EES3_S5_EELb0ELb0EEEvPS3_PS4_i, .Lfunc_end75-_ZN4vllm17activation_kernelIN3c104HalfETnPFT_RKS3_EXadL_ZNS_16gelu_fast_kernelIS2_EES3_S5_EELb0ELb0EEEvPS3_PS4_i
                                        ; -- End function
	.section	.AMDGPU.csdata,"",@progbits
; Kernel info:
; codeLenInByte = 560
; NumSgprs: 18
; NumVgprs: 10
; ScratchSize: 0
; MemoryBound: 0
; FloatMode: 240
; IeeeMode: 1
; LDSByteSize: 0 bytes/workgroup (compile time only)
; SGPRBlocks: 2
; VGPRBlocks: 1
; NumSGPRsForWavesPerEU: 18
; NumVGPRsForWavesPerEU: 10
; Occupancy: 16
; WaveLimiterHint : 0
; COMPUTE_PGM_RSRC2:SCRATCH_EN: 0
; COMPUTE_PGM_RSRC2:USER_SGPR: 15
; COMPUTE_PGM_RSRC2:TRAP_HANDLER: 0
; COMPUTE_PGM_RSRC2:TGID_X_EN: 1
; COMPUTE_PGM_RSRC2:TGID_Y_EN: 0
; COMPUTE_PGM_RSRC2:TGID_Z_EN: 0
; COMPUTE_PGM_RSRC2:TIDIG_COMP_CNT: 0
	.section	.text._ZN4vllm17activation_kernelIN3c108BFloat16ETnPFT_RKS3_EXadL_ZNS_16gelu_fast_kernelIS2_EES3_S5_EELb0ELb0EEEvPS3_PS4_i,"axG",@progbits,_ZN4vllm17activation_kernelIN3c108BFloat16ETnPFT_RKS3_EXadL_ZNS_16gelu_fast_kernelIS2_EES3_S5_EELb0ELb0EEEvPS3_PS4_i,comdat
	.protected	_ZN4vllm17activation_kernelIN3c108BFloat16ETnPFT_RKS3_EXadL_ZNS_16gelu_fast_kernelIS2_EES3_S5_EELb0ELb0EEEvPS3_PS4_i ; -- Begin function _ZN4vllm17activation_kernelIN3c108BFloat16ETnPFT_RKS3_EXadL_ZNS_16gelu_fast_kernelIS2_EES3_S5_EELb0ELb0EEEvPS3_PS4_i
	.globl	_ZN4vllm17activation_kernelIN3c108BFloat16ETnPFT_RKS3_EXadL_ZNS_16gelu_fast_kernelIS2_EES3_S5_EELb0ELb0EEEvPS3_PS4_i
	.p2align	8
	.type	_ZN4vllm17activation_kernelIN3c108BFloat16ETnPFT_RKS3_EXadL_ZNS_16gelu_fast_kernelIS2_EES3_S5_EELb0ELb0EEEvPS3_PS4_i,@function
_ZN4vllm17activation_kernelIN3c108BFloat16ETnPFT_RKS3_EXadL_ZNS_16gelu_fast_kernelIS2_EES3_S5_EELb0ELb0EEEvPS3_PS4_i: ; @_ZN4vllm17activation_kernelIN3c108BFloat16ETnPFT_RKS3_EXadL_ZNS_16gelu_fast_kernelIS2_EES3_S5_EELb0ELb0EEEvPS3_PS4_i
; %bb.0:
	s_load_b32 s2, s[0:1], 0x10
	s_mov_b32 s3, exec_lo
	s_waitcnt lgkmcnt(0)
	v_cmpx_gt_i32_e64 s2, v0
	s_cbranch_execz .LBB76_7
; %bb.1:
	s_clause 0x1
	s_load_b32 s3, s[0:1], 0x24
	s_load_b128 s[4:7], s[0:1], 0x0
	v_dual_mov_b32 v1, 0 :: v_dual_lshlrev_b32 v2, 1, v0
	s_mul_i32 s0, s15, s2
	s_mov_b32 s1, 0
	s_mov_b32 s10, 0xbbbac73d
	s_lshl_b64 s[8:9], s[0:1], 1
	s_delay_alu instid0(SALU_CYCLE_1) | instskip(NEXT) | instid1(VALU_DEP_1)
	v_add_co_u32 v2, s0, v2, s8
	v_add_co_ci_u32_e64 v3, null, 0, s9, s0
	s_waitcnt lgkmcnt(0)
	s_and_b32 s8, s3, 0xffff
	s_ashr_i32 s3, s2, 31
	s_lshl_b32 s9, s8, 1
	s_branch .LBB76_3
.LBB76_2:                               ;   in Loop: Header=BB76_3 Depth=1
	s_or_b32 exec_lo, exec_lo, s0
	s_waitcnt_depctr 0xfff
	v_bfi_b32 v5, 0x7fffffff, v6, v5
	s_delay_alu instid0(VALU_DEP_1) | instskip(SKIP_1) | instid1(VALU_DEP_2)
	v_bfe_u32 v6, v5, 16, 1
	v_cmp_o_f32_e32 vcc_lo, v5, v5
	v_add3_u32 v6, v5, v6, 0x7fff
	s_delay_alu instid0(VALU_DEP_1) | instskip(NEXT) | instid1(VALU_DEP_1)
	v_and_b32_e32 v6, 0xffff0000, v6
	v_add_f32_e32 v6, 1.0, v6
	s_delay_alu instid0(VALU_DEP_1) | instskip(NEXT) | instid1(VALU_DEP_1)
	v_dual_mul_f32 v4, 0.5, v4 :: v_dual_cndmask_b32 v5, 0x7fc00000, v6
	v_bfe_u32 v6, v4, 16, 1
	v_cmp_o_f32_e32 vcc_lo, v4, v4
	s_delay_alu instid0(VALU_DEP_3) | instskip(NEXT) | instid1(VALU_DEP_3)
	v_bfe_u32 v7, v5, 16, 1
	v_add3_u32 v6, v4, v6, 0x7fff
	s_delay_alu instid0(VALU_DEP_2) | instskip(NEXT) | instid1(VALU_DEP_2)
	v_add3_u32 v7, v5, v7, 0x7fff
	v_and_b32_e32 v6, 0xffff0000, v6
	s_delay_alu instid0(VALU_DEP_2) | instskip(NEXT) | instid1(VALU_DEP_2)
	v_and_b32_e32 v7, 0xffff0000, v7
	v_cndmask_b32_e32 v4, 0x7fc00000, v6, vcc_lo
	v_cmp_o_f32_e32 vcc_lo, v5, v5
	s_delay_alu instid0(VALU_DEP_3) | instskip(SKIP_2) | instid1(VALU_DEP_3)
	v_cndmask_b32_e32 v5, 0x7fc00000, v7, vcc_lo
	v_add_co_u32 v0, vcc_lo, v0, s8
	v_add_co_ci_u32_e32 v1, vcc_lo, 0, v1, vcc_lo
	v_mul_f32_e32 v6, v4, v5
	s_delay_alu instid0(VALU_DEP_1) | instskip(SKIP_1) | instid1(VALU_DEP_2)
	v_bfe_u32 v4, v6, 16, 1
	v_cmp_o_f32_e64 s0, v6, v6
	v_add3_u32 v4, v6, v4, 0x7fff
	s_delay_alu instid0(VALU_DEP_1) | instskip(SKIP_3) | instid1(VALU_DEP_4)
	v_lshrrev_b32_e32 v7, 16, v4
	v_add_co_u32 v4, vcc_lo, s4, v2
	v_add_co_ci_u32_e32 v5, vcc_lo, s5, v3, vcc_lo
	v_cmp_le_i64_e32 vcc_lo, s[2:3], v[0:1]
	v_cndmask_b32_e64 v6, 0x7fc0, v7, s0
	v_add_co_u32 v2, s0, v2, s9
	s_delay_alu instid0(VALU_DEP_1)
	v_add_co_ci_u32_e64 v3, s0, 0, v3, s0
	s_or_b32 s1, vcc_lo, s1
	global_store_b16 v[4:5], v6, off
	s_and_not1_b32 exec_lo, exec_lo, s1
	s_cbranch_execz .LBB76_7
.LBB76_3:                               ; =>This Inner Loop Header: Depth=1
	v_add_co_u32 v4, vcc_lo, s6, v2
	v_add_co_ci_u32_e32 v5, vcc_lo, s7, v3, vcc_lo
	s_mov_b32 s11, exec_lo
	global_load_u16 v4, v[4:5], off
	s_waitcnt vmcnt(0)
	v_lshlrev_b32_e32 v4, 16, v4
	s_delay_alu instid0(VALU_DEP_1) | instskip(NEXT) | instid1(VALU_DEP_1)
	v_mul_f32_e32 v5, 0x3d372713, v4
	v_bfe_u32 v6, v5, 16, 1
	v_cmp_o_f32_e32 vcc_lo, v5, v5
	s_delay_alu instid0(VALU_DEP_2) | instskip(NEXT) | instid1(VALU_DEP_1)
	v_add3_u32 v6, v5, v6, 0x7fff
	v_and_b32_e32 v6, 0xffff0000, v6
	s_delay_alu instid0(VALU_DEP_1) | instskip(SKIP_1) | instid1(VALU_DEP_2)
	v_cndmask_b32_e32 v5, 0x7fc00000, v6, vcc_lo
	v_mul_f32_e32 v7, 0x3f4c422a, v4
	v_mul_f32_e32 v5, v5, v4
	s_delay_alu instid0(VALU_DEP_1) | instskip(SKIP_1) | instid1(VALU_DEP_2)
	v_bfe_u32 v6, v5, 16, 1
	v_cmp_o_f32_e32 vcc_lo, v5, v5
	v_add3_u32 v6, v5, v6, 0x7fff
	s_delay_alu instid0(VALU_DEP_1) | instskip(NEXT) | instid1(VALU_DEP_1)
	v_and_b32_e32 v6, 0xffff0000, v6
	v_add_f32_e32 v6, 1.0, v6
	s_delay_alu instid0(VALU_DEP_1) | instskip(SKIP_2) | instid1(VALU_DEP_3)
	v_cndmask_b32_e32 v5, 0x7fc00000, v6, vcc_lo
	v_bfe_u32 v6, v7, 16, 1
	v_cmp_o_f32_e32 vcc_lo, v7, v7
	v_bfe_u32 v8, v5, 16, 1
	s_delay_alu instid0(VALU_DEP_3) | instskip(NEXT) | instid1(VALU_DEP_2)
	v_add3_u32 v6, v7, v6, 0x7fff
	v_add3_u32 v8, v5, v8, 0x7fff
	s_delay_alu instid0(VALU_DEP_2) | instskip(NEXT) | instid1(VALU_DEP_2)
	v_and_b32_e32 v6, 0xffff0000, v6
	v_and_b32_e32 v8, 0xffff0000, v8
	s_delay_alu instid0(VALU_DEP_2) | instskip(SKIP_1) | instid1(VALU_DEP_3)
	v_cndmask_b32_e32 v6, 0x7fc00000, v6, vcc_lo
	v_cmp_o_f32_e32 vcc_lo, v5, v5
	v_cndmask_b32_e32 v5, 0x7fc00000, v8, vcc_lo
	s_delay_alu instid0(VALU_DEP_1) | instskip(NEXT) | instid1(VALU_DEP_1)
	v_mul_f32_e32 v6, v6, v5
	v_bfe_u32 v5, v6, 16, 1
	v_cmp_u_f32_e32 vcc_lo, v6, v6
	s_delay_alu instid0(VALU_DEP_2) | instskip(NEXT) | instid1(VALU_DEP_1)
	v_add3_u32 v5, v6, v5, 0x7fff
	v_and_b32_e32 v5, 0xffff0000, v5
	s_delay_alu instid0(VALU_DEP_1) | instskip(NEXT) | instid1(VALU_DEP_1)
	v_cndmask_b32_e64 v6, |v5|, 0x7fc00000, vcc_lo
	v_cmpx_ngt_f32_e32 0x3f200000, v6
	s_xor_b32 s11, exec_lo, s11
	s_cbranch_execz .LBB76_5
; %bb.4:                                ;   in Loop: Header=BB76_3 Depth=1
	v_add_f32_e32 v6, v6, v6
	s_delay_alu instid0(VALU_DEP_1) | instskip(NEXT) | instid1(VALU_DEP_1)
	v_mul_f32_e32 v7, 0x3fb8aa3b, v6
	v_rndne_f32_e32 v8, v7
	v_fma_f32 v9, 0x3fb8aa3b, v6, -v7
	s_delay_alu instid0(VALU_DEP_2) | instskip(NEXT) | instid1(VALU_DEP_2)
	v_sub_f32_e32 v7, v7, v8
	v_fmac_f32_e32 v9, 0x32a5705f, v6
	v_cvt_i32_f32_e32 v8, v8
	v_cmp_ngt_f32_e64 s0, 0xc2ce8ed0, v6
	s_delay_alu instid0(VALU_DEP_3) | instskip(NEXT) | instid1(VALU_DEP_1)
	v_add_f32_e32 v7, v7, v9
	v_exp_f32_e32 v7, v7
	s_waitcnt_depctr 0xfff
	v_ldexp_f32 v7, v7, v8
	s_delay_alu instid0(VALU_DEP_1) | instskip(SKIP_1) | instid1(VALU_DEP_1)
	v_cndmask_b32_e64 v7, 0, v7, s0
	v_cmp_nlt_f32_e64 s0, 0x42b17218, v6
	v_cndmask_b32_e64 v6, 0x7f800000, v7, s0
	s_delay_alu instid0(VALU_DEP_1) | instskip(NEXT) | instid1(VALU_DEP_1)
	v_add_f32_e32 v6, 1.0, v6
	v_rcp_f32_e32 v6, v6
	s_waitcnt_depctr 0xfff
	v_fma_f32 v6, v6, -2.0, 1.0
.LBB76_5:                               ;   in Loop: Header=BB76_3 Depth=1
	s_or_saveexec_b32 s0, s11
	v_cndmask_b32_e64 v5, v5, 0x7fc00000, vcc_lo
	s_xor_b32 exec_lo, exec_lo, s0
	s_cbranch_execz .LBB76_2
; %bb.6:                                ;   in Loop: Header=BB76_3 Depth=1
	s_delay_alu instid0(VALU_DEP_1) | instskip(NEXT) | instid1(VALU_DEP_1)
	v_mul_f32_e32 v7, v5, v5
	v_fmaak_f32 v8, s10, v7, 0x3ca908c9
	s_delay_alu instid0(VALU_DEP_1) | instskip(NEXT) | instid1(VALU_DEP_1)
	v_fmaak_f32 v8, v7, v8, 0xbd5c1c4e
	v_fmaak_f32 v8, v7, v8, 0x3e088382
	s_delay_alu instid0(VALU_DEP_1) | instskip(NEXT) | instid1(VALU_DEP_1)
	v_fmaak_f32 v8, v7, v8, 0xbeaaaa99
	v_mul_f32_e32 v8, v6, v8
	s_delay_alu instid0(VALU_DEP_1)
	v_fmac_f32_e32 v6, v7, v8
	s_branch .LBB76_2
.LBB76_7:
	s_nop 0
	s_sendmsg sendmsg(MSG_DEALLOC_VGPRS)
	s_endpgm
	.section	.rodata,"a",@progbits
	.p2align	6, 0x0
	.amdhsa_kernel _ZN4vllm17activation_kernelIN3c108BFloat16ETnPFT_RKS3_EXadL_ZNS_16gelu_fast_kernelIS2_EES3_S5_EELb0ELb0EEEvPS3_PS4_i
		.amdhsa_group_segment_fixed_size 0
		.amdhsa_private_segment_fixed_size 0
		.amdhsa_kernarg_size 280
		.amdhsa_user_sgpr_count 15
		.amdhsa_user_sgpr_dispatch_ptr 0
		.amdhsa_user_sgpr_queue_ptr 0
		.amdhsa_user_sgpr_kernarg_segment_ptr 1
		.amdhsa_user_sgpr_dispatch_id 0
		.amdhsa_user_sgpr_private_segment_size 0
		.amdhsa_wavefront_size32 1
		.amdhsa_uses_dynamic_stack 0
		.amdhsa_enable_private_segment 0
		.amdhsa_system_sgpr_workgroup_id_x 1
		.amdhsa_system_sgpr_workgroup_id_y 0
		.amdhsa_system_sgpr_workgroup_id_z 0
		.amdhsa_system_sgpr_workgroup_info 0
		.amdhsa_system_vgpr_workitem_id 0
		.amdhsa_next_free_vgpr 10
		.amdhsa_next_free_sgpr 16
		.amdhsa_reserve_vcc 1
		.amdhsa_float_round_mode_32 0
		.amdhsa_float_round_mode_16_64 0
		.amdhsa_float_denorm_mode_32 3
		.amdhsa_float_denorm_mode_16_64 3
		.amdhsa_dx10_clamp 1
		.amdhsa_ieee_mode 1
		.amdhsa_fp16_overflow 0
		.amdhsa_workgroup_processor_mode 1
		.amdhsa_memory_ordered 1
		.amdhsa_forward_progress 0
		.amdhsa_shared_vgpr_count 0
		.amdhsa_exception_fp_ieee_invalid_op 0
		.amdhsa_exception_fp_denorm_src 0
		.amdhsa_exception_fp_ieee_div_zero 0
		.amdhsa_exception_fp_ieee_overflow 0
		.amdhsa_exception_fp_ieee_underflow 0
		.amdhsa_exception_fp_ieee_inexact 0
		.amdhsa_exception_int_div_zero 0
	.end_amdhsa_kernel
	.section	.text._ZN4vllm17activation_kernelIN3c108BFloat16ETnPFT_RKS3_EXadL_ZNS_16gelu_fast_kernelIS2_EES3_S5_EELb0ELb0EEEvPS3_PS4_i,"axG",@progbits,_ZN4vllm17activation_kernelIN3c108BFloat16ETnPFT_RKS3_EXadL_ZNS_16gelu_fast_kernelIS2_EES3_S5_EELb0ELb0EEEvPS3_PS4_i,comdat
.Lfunc_end76:
	.size	_ZN4vllm17activation_kernelIN3c108BFloat16ETnPFT_RKS3_EXadL_ZNS_16gelu_fast_kernelIS2_EES3_S5_EELb0ELb0EEEvPS3_PS4_i, .Lfunc_end76-_ZN4vllm17activation_kernelIN3c108BFloat16ETnPFT_RKS3_EXadL_ZNS_16gelu_fast_kernelIS2_EES3_S5_EELb0ELb0EEEvPS3_PS4_i
                                        ; -- End function
	.section	.AMDGPU.csdata,"",@progbits
; Kernel info:
; codeLenInByte = 996
; NumSgprs: 18
; NumVgprs: 10
; ScratchSize: 0
; MemoryBound: 0
; FloatMode: 240
; IeeeMode: 1
; LDSByteSize: 0 bytes/workgroup (compile time only)
; SGPRBlocks: 2
; VGPRBlocks: 1
; NumSGPRsForWavesPerEU: 18
; NumVGPRsForWavesPerEU: 10
; Occupancy: 16
; WaveLimiterHint : 0
; COMPUTE_PGM_RSRC2:SCRATCH_EN: 0
; COMPUTE_PGM_RSRC2:USER_SGPR: 15
; COMPUTE_PGM_RSRC2:TRAP_HANDLER: 0
; COMPUTE_PGM_RSRC2:TGID_X_EN: 1
; COMPUTE_PGM_RSRC2:TGID_Y_EN: 0
; COMPUTE_PGM_RSRC2:TGID_Z_EN: 0
; COMPUTE_PGM_RSRC2:TIDIG_COMP_CNT: 0
	.section	.text._ZN4vllm17activation_kernelIfTnPFT_RKS1_EXadL_ZNS_17gelu_quick_kernelIfEES1_S3_EELb1ELb1EEEvPS1_PS2_i,"axG",@progbits,_ZN4vllm17activation_kernelIfTnPFT_RKS1_EXadL_ZNS_17gelu_quick_kernelIfEES1_S3_EELb1ELb1EEEvPS1_PS2_i,comdat
	.protected	_ZN4vllm17activation_kernelIfTnPFT_RKS1_EXadL_ZNS_17gelu_quick_kernelIfEES1_S3_EELb1ELb1EEEvPS1_PS2_i ; -- Begin function _ZN4vllm17activation_kernelIfTnPFT_RKS1_EXadL_ZNS_17gelu_quick_kernelIfEES1_S3_EELb1ELb1EEEvPS1_PS2_i
	.globl	_ZN4vllm17activation_kernelIfTnPFT_RKS1_EXadL_ZNS_17gelu_quick_kernelIfEES1_S3_EELb1ELb1EEEvPS1_PS2_i
	.p2align	8
	.type	_ZN4vllm17activation_kernelIfTnPFT_RKS1_EXadL_ZNS_17gelu_quick_kernelIfEES1_S3_EELb1ELb1EEEvPS1_PS2_i,@function
_ZN4vllm17activation_kernelIfTnPFT_RKS1_EXadL_ZNS_17gelu_quick_kernelIfEES1_S3_EELb1ELb1EEEvPS1_PS2_i: ; @_ZN4vllm17activation_kernelIfTnPFT_RKS1_EXadL_ZNS_17gelu_quick_kernelIfEES1_S3_EELb1ELb1EEEvPS1_PS2_i
; %bb.0:
	s_load_b32 s2, s[0:1], 0x10
	s_mov_b32 s32, 0
	s_waitcnt lgkmcnt(0)
	s_ashr_i32 s3, s2, 31
	s_delay_alu instid0(SALU_CYCLE_1) | instskip(NEXT) | instid1(SALU_CYCLE_1)
	s_lshr_b32 s3, s3, 29
	s_add_i32 s2, s2, s3
	s_delay_alu instid0(SALU_CYCLE_1) | instskip(NEXT) | instid1(SALU_CYCLE_1)
	s_ashr_i32 s2, s2, 3
	v_cmp_gt_i32_e32 vcc_lo, s2, v0
	s_and_saveexec_b32 s2, vcc_lo
	s_cbranch_execz .LBB77_2
; %bb.1:
	s_add_u32 s8, s0, 24
	s_addc_u32 s9, s1, 0
	s_getpc_b64 s[0:1]
	s_add_u32 s0, s0, .str@rel32@lo+4
	s_addc_u32 s1, s1, .str@rel32@hi+12
	s_getpc_b64 s[2:3]
	s_add_u32 s2, s2, __PRETTY_FUNCTION__._ZN4vllm5ld256ERNS_7u32x8_tEPKS0_@rel32@lo+4
	s_addc_u32 s3, s3, __PRETTY_FUNCTION__._ZN4vllm5ld256ERNS_7u32x8_tEPKS0_@rel32@hi+12
	v_dual_mov_b32 v0, s0 :: v_dual_mov_b32 v1, s1
	v_dual_mov_b32 v2, 0x93 :: v_dual_mov_b32 v3, s2
	v_mov_b32_e32 v4, s3
	s_getpc_b64 s[4:5]
	s_add_u32 s4, s4, __assert_fail@rel32@lo+4
	s_addc_u32 s5, s5, __assert_fail@rel32@hi+12
	s_delay_alu instid0(SALU_CYCLE_1)
	s_swappc_b64 s[30:31], s[4:5]
	; divergent unreachable
.LBB77_2:
	s_endpgm
	.section	.rodata,"a",@progbits
	.p2align	6, 0x0
	.amdhsa_kernel _ZN4vllm17activation_kernelIfTnPFT_RKS1_EXadL_ZNS_17gelu_quick_kernelIfEES1_S3_EELb1ELb1EEEvPS1_PS2_i
		.amdhsa_group_segment_fixed_size 0
		.amdhsa_private_segment_fixed_size 64
		.amdhsa_kernarg_size 280
		.amdhsa_user_sgpr_count 15
		.amdhsa_user_sgpr_dispatch_ptr 0
		.amdhsa_user_sgpr_queue_ptr 0
		.amdhsa_user_sgpr_kernarg_segment_ptr 1
		.amdhsa_user_sgpr_dispatch_id 0
		.amdhsa_user_sgpr_private_segment_size 0
		.amdhsa_wavefront_size32 1
		.amdhsa_uses_dynamic_stack 0
		.amdhsa_enable_private_segment 1
		.amdhsa_system_sgpr_workgroup_id_x 1
		.amdhsa_system_sgpr_workgroup_id_y 0
		.amdhsa_system_sgpr_workgroup_id_z 0
		.amdhsa_system_sgpr_workgroup_info 0
		.amdhsa_system_vgpr_workitem_id 0
		.amdhsa_next_free_vgpr 51
		.amdhsa_next_free_sgpr 34
		.amdhsa_reserve_vcc 1
		.amdhsa_float_round_mode_32 0
		.amdhsa_float_round_mode_16_64 0
		.amdhsa_float_denorm_mode_32 3
		.amdhsa_float_denorm_mode_16_64 3
		.amdhsa_dx10_clamp 1
		.amdhsa_ieee_mode 1
		.amdhsa_fp16_overflow 0
		.amdhsa_workgroup_processor_mode 1
		.amdhsa_memory_ordered 1
		.amdhsa_forward_progress 0
		.amdhsa_shared_vgpr_count 0
		.amdhsa_exception_fp_ieee_invalid_op 0
		.amdhsa_exception_fp_denorm_src 0
		.amdhsa_exception_fp_ieee_div_zero 0
		.amdhsa_exception_fp_ieee_overflow 0
		.amdhsa_exception_fp_ieee_underflow 0
		.amdhsa_exception_fp_ieee_inexact 0
		.amdhsa_exception_int_div_zero 0
	.end_amdhsa_kernel
	.section	.text._ZN4vllm17activation_kernelIfTnPFT_RKS1_EXadL_ZNS_17gelu_quick_kernelIfEES1_S3_EELb1ELb1EEEvPS1_PS2_i,"axG",@progbits,_ZN4vllm17activation_kernelIfTnPFT_RKS1_EXadL_ZNS_17gelu_quick_kernelIfEES1_S3_EELb1ELb1EEEvPS1_PS2_i,comdat
.Lfunc_end77:
	.size	_ZN4vllm17activation_kernelIfTnPFT_RKS1_EXadL_ZNS_17gelu_quick_kernelIfEES1_S3_EELb1ELb1EEEvPS1_PS2_i, .Lfunc_end77-_ZN4vllm17activation_kernelIfTnPFT_RKS1_EXadL_ZNS_17gelu_quick_kernelIfEES1_S3_EELb1ELb1EEEvPS1_PS2_i
                                        ; -- End function
	.section	.AMDGPU.csdata,"",@progbits
; Kernel info:
; codeLenInByte = 156
; NumSgprs: 36
; NumVgprs: 51
; ScratchSize: 64
; MemoryBound: 0
; FloatMode: 240
; IeeeMode: 1
; LDSByteSize: 0 bytes/workgroup (compile time only)
; SGPRBlocks: 4
; VGPRBlocks: 6
; NumSGPRsForWavesPerEU: 36
; NumVGPRsForWavesPerEU: 51
; Occupancy: 16
; WaveLimiterHint : 1
; COMPUTE_PGM_RSRC2:SCRATCH_EN: 1
; COMPUTE_PGM_RSRC2:USER_SGPR: 15
; COMPUTE_PGM_RSRC2:TRAP_HANDLER: 0
; COMPUTE_PGM_RSRC2:TGID_X_EN: 1
; COMPUTE_PGM_RSRC2:TGID_Y_EN: 0
; COMPUTE_PGM_RSRC2:TGID_Z_EN: 0
; COMPUTE_PGM_RSRC2:TIDIG_COMP_CNT: 0
	.section	.text._ZN4vllm17activation_kernelIN3c104HalfETnPFT_RKS3_EXadL_ZNS_17gelu_quick_kernelIS2_EES3_S5_EELb1ELb1EEEvPS3_PS4_i,"axG",@progbits,_ZN4vllm17activation_kernelIN3c104HalfETnPFT_RKS3_EXadL_ZNS_17gelu_quick_kernelIS2_EES3_S5_EELb1ELb1EEEvPS3_PS4_i,comdat
	.protected	_ZN4vllm17activation_kernelIN3c104HalfETnPFT_RKS3_EXadL_ZNS_17gelu_quick_kernelIS2_EES3_S5_EELb1ELb1EEEvPS3_PS4_i ; -- Begin function _ZN4vllm17activation_kernelIN3c104HalfETnPFT_RKS3_EXadL_ZNS_17gelu_quick_kernelIS2_EES3_S5_EELb1ELb1EEEvPS3_PS4_i
	.globl	_ZN4vllm17activation_kernelIN3c104HalfETnPFT_RKS3_EXadL_ZNS_17gelu_quick_kernelIS2_EES3_S5_EELb1ELb1EEEvPS3_PS4_i
	.p2align	8
	.type	_ZN4vllm17activation_kernelIN3c104HalfETnPFT_RKS3_EXadL_ZNS_17gelu_quick_kernelIS2_EES3_S5_EELb1ELb1EEEvPS3_PS4_i,@function
_ZN4vllm17activation_kernelIN3c104HalfETnPFT_RKS3_EXadL_ZNS_17gelu_quick_kernelIS2_EES3_S5_EELb1ELb1EEEvPS3_PS4_i: ; @_ZN4vllm17activation_kernelIN3c104HalfETnPFT_RKS3_EXadL_ZNS_17gelu_quick_kernelIS2_EES3_S5_EELb1ELb1EEEvPS3_PS4_i
; %bb.0:
	s_load_b32 s2, s[0:1], 0x10
	s_mov_b32 s32, 0
	s_waitcnt lgkmcnt(0)
	s_ashr_i32 s3, s2, 31
	s_delay_alu instid0(SALU_CYCLE_1) | instskip(NEXT) | instid1(SALU_CYCLE_1)
	s_lshr_b32 s3, s3, 28
	s_add_i32 s2, s2, s3
	s_delay_alu instid0(SALU_CYCLE_1) | instskip(NEXT) | instid1(SALU_CYCLE_1)
	s_ashr_i32 s2, s2, 4
	v_cmp_gt_i32_e32 vcc_lo, s2, v0
	s_and_saveexec_b32 s2, vcc_lo
	s_cbranch_execz .LBB78_2
; %bb.1:
	s_add_u32 s8, s0, 24
	s_addc_u32 s9, s1, 0
	s_getpc_b64 s[0:1]
	s_add_u32 s0, s0, .str@rel32@lo+4
	s_addc_u32 s1, s1, .str@rel32@hi+12
	s_getpc_b64 s[2:3]
	s_add_u32 s2, s2, __PRETTY_FUNCTION__._ZN4vllm5ld256ERNS_7u32x8_tEPKS0_@rel32@lo+4
	s_addc_u32 s3, s3, __PRETTY_FUNCTION__._ZN4vllm5ld256ERNS_7u32x8_tEPKS0_@rel32@hi+12
	v_dual_mov_b32 v0, s0 :: v_dual_mov_b32 v1, s1
	v_dual_mov_b32 v2, 0x93 :: v_dual_mov_b32 v3, s2
	v_mov_b32_e32 v4, s3
	s_getpc_b64 s[4:5]
	s_add_u32 s4, s4, __assert_fail@rel32@lo+4
	s_addc_u32 s5, s5, __assert_fail@rel32@hi+12
	s_delay_alu instid0(SALU_CYCLE_1)
	s_swappc_b64 s[30:31], s[4:5]
	; divergent unreachable
.LBB78_2:
	s_endpgm
	.section	.rodata,"a",@progbits
	.p2align	6, 0x0
	.amdhsa_kernel _ZN4vllm17activation_kernelIN3c104HalfETnPFT_RKS3_EXadL_ZNS_17gelu_quick_kernelIS2_EES3_S5_EELb1ELb1EEEvPS3_PS4_i
		.amdhsa_group_segment_fixed_size 0
		.amdhsa_private_segment_fixed_size 64
		.amdhsa_kernarg_size 280
		.amdhsa_user_sgpr_count 15
		.amdhsa_user_sgpr_dispatch_ptr 0
		.amdhsa_user_sgpr_queue_ptr 0
		.amdhsa_user_sgpr_kernarg_segment_ptr 1
		.amdhsa_user_sgpr_dispatch_id 0
		.amdhsa_user_sgpr_private_segment_size 0
		.amdhsa_wavefront_size32 1
		.amdhsa_uses_dynamic_stack 0
		.amdhsa_enable_private_segment 1
		.amdhsa_system_sgpr_workgroup_id_x 1
		.amdhsa_system_sgpr_workgroup_id_y 0
		.amdhsa_system_sgpr_workgroup_id_z 0
		.amdhsa_system_sgpr_workgroup_info 0
		.amdhsa_system_vgpr_workitem_id 0
		.amdhsa_next_free_vgpr 51
		.amdhsa_next_free_sgpr 34
		.amdhsa_reserve_vcc 1
		.amdhsa_float_round_mode_32 0
		.amdhsa_float_round_mode_16_64 0
		.amdhsa_float_denorm_mode_32 3
		.amdhsa_float_denorm_mode_16_64 3
		.amdhsa_dx10_clamp 1
		.amdhsa_ieee_mode 1
		.amdhsa_fp16_overflow 0
		.amdhsa_workgroup_processor_mode 1
		.amdhsa_memory_ordered 1
		.amdhsa_forward_progress 0
		.amdhsa_shared_vgpr_count 0
		.amdhsa_exception_fp_ieee_invalid_op 0
		.amdhsa_exception_fp_denorm_src 0
		.amdhsa_exception_fp_ieee_div_zero 0
		.amdhsa_exception_fp_ieee_overflow 0
		.amdhsa_exception_fp_ieee_underflow 0
		.amdhsa_exception_fp_ieee_inexact 0
		.amdhsa_exception_int_div_zero 0
	.end_amdhsa_kernel
	.section	.text._ZN4vllm17activation_kernelIN3c104HalfETnPFT_RKS3_EXadL_ZNS_17gelu_quick_kernelIS2_EES3_S5_EELb1ELb1EEEvPS3_PS4_i,"axG",@progbits,_ZN4vllm17activation_kernelIN3c104HalfETnPFT_RKS3_EXadL_ZNS_17gelu_quick_kernelIS2_EES3_S5_EELb1ELb1EEEvPS3_PS4_i,comdat
.Lfunc_end78:
	.size	_ZN4vllm17activation_kernelIN3c104HalfETnPFT_RKS3_EXadL_ZNS_17gelu_quick_kernelIS2_EES3_S5_EELb1ELb1EEEvPS3_PS4_i, .Lfunc_end78-_ZN4vllm17activation_kernelIN3c104HalfETnPFT_RKS3_EXadL_ZNS_17gelu_quick_kernelIS2_EES3_S5_EELb1ELb1EEEvPS3_PS4_i
                                        ; -- End function
	.section	.AMDGPU.csdata,"",@progbits
; Kernel info:
; codeLenInByte = 156
; NumSgprs: 36
; NumVgprs: 51
; ScratchSize: 64
; MemoryBound: 0
; FloatMode: 240
; IeeeMode: 1
; LDSByteSize: 0 bytes/workgroup (compile time only)
; SGPRBlocks: 4
; VGPRBlocks: 6
; NumSGPRsForWavesPerEU: 36
; NumVGPRsForWavesPerEU: 51
; Occupancy: 16
; WaveLimiterHint : 1
; COMPUTE_PGM_RSRC2:SCRATCH_EN: 1
; COMPUTE_PGM_RSRC2:USER_SGPR: 15
; COMPUTE_PGM_RSRC2:TRAP_HANDLER: 0
; COMPUTE_PGM_RSRC2:TGID_X_EN: 1
; COMPUTE_PGM_RSRC2:TGID_Y_EN: 0
; COMPUTE_PGM_RSRC2:TGID_Z_EN: 0
; COMPUTE_PGM_RSRC2:TIDIG_COMP_CNT: 0
	.section	.text._ZN4vllm17activation_kernelIN3c108BFloat16ETnPFT_RKS3_EXadL_ZNS_17gelu_quick_kernelIS2_EES3_S5_EELb1ELb1EEEvPS3_PS4_i,"axG",@progbits,_ZN4vllm17activation_kernelIN3c108BFloat16ETnPFT_RKS3_EXadL_ZNS_17gelu_quick_kernelIS2_EES3_S5_EELb1ELb1EEEvPS3_PS4_i,comdat
	.protected	_ZN4vllm17activation_kernelIN3c108BFloat16ETnPFT_RKS3_EXadL_ZNS_17gelu_quick_kernelIS2_EES3_S5_EELb1ELb1EEEvPS3_PS4_i ; -- Begin function _ZN4vllm17activation_kernelIN3c108BFloat16ETnPFT_RKS3_EXadL_ZNS_17gelu_quick_kernelIS2_EES3_S5_EELb1ELb1EEEvPS3_PS4_i
	.globl	_ZN4vllm17activation_kernelIN3c108BFloat16ETnPFT_RKS3_EXadL_ZNS_17gelu_quick_kernelIS2_EES3_S5_EELb1ELb1EEEvPS3_PS4_i
	.p2align	8
	.type	_ZN4vllm17activation_kernelIN3c108BFloat16ETnPFT_RKS3_EXadL_ZNS_17gelu_quick_kernelIS2_EES3_S5_EELb1ELb1EEEvPS3_PS4_i,@function
_ZN4vllm17activation_kernelIN3c108BFloat16ETnPFT_RKS3_EXadL_ZNS_17gelu_quick_kernelIS2_EES3_S5_EELb1ELb1EEEvPS3_PS4_i: ; @_ZN4vllm17activation_kernelIN3c108BFloat16ETnPFT_RKS3_EXadL_ZNS_17gelu_quick_kernelIS2_EES3_S5_EELb1ELb1EEEvPS3_PS4_i
; %bb.0:
	s_load_b32 s2, s[0:1], 0x10
	s_mov_b32 s32, 0
	s_waitcnt lgkmcnt(0)
	s_ashr_i32 s3, s2, 31
	s_delay_alu instid0(SALU_CYCLE_1) | instskip(NEXT) | instid1(SALU_CYCLE_1)
	s_lshr_b32 s3, s3, 28
	s_add_i32 s2, s2, s3
	s_delay_alu instid0(SALU_CYCLE_1) | instskip(NEXT) | instid1(SALU_CYCLE_1)
	s_ashr_i32 s2, s2, 4
	v_cmp_gt_i32_e32 vcc_lo, s2, v0
	s_and_saveexec_b32 s2, vcc_lo
	s_cbranch_execz .LBB79_2
; %bb.1:
	s_add_u32 s8, s0, 24
	s_addc_u32 s9, s1, 0
	s_getpc_b64 s[0:1]
	s_add_u32 s0, s0, .str@rel32@lo+4
	s_addc_u32 s1, s1, .str@rel32@hi+12
	s_getpc_b64 s[2:3]
	s_add_u32 s2, s2, __PRETTY_FUNCTION__._ZN4vllm5ld256ERNS_7u32x8_tEPKS0_@rel32@lo+4
	s_addc_u32 s3, s3, __PRETTY_FUNCTION__._ZN4vllm5ld256ERNS_7u32x8_tEPKS0_@rel32@hi+12
	v_dual_mov_b32 v0, s0 :: v_dual_mov_b32 v1, s1
	v_dual_mov_b32 v2, 0x93 :: v_dual_mov_b32 v3, s2
	v_mov_b32_e32 v4, s3
	s_getpc_b64 s[4:5]
	s_add_u32 s4, s4, __assert_fail@rel32@lo+4
	s_addc_u32 s5, s5, __assert_fail@rel32@hi+12
	s_delay_alu instid0(SALU_CYCLE_1)
	s_swappc_b64 s[30:31], s[4:5]
	; divergent unreachable
.LBB79_2:
	s_endpgm
	.section	.rodata,"a",@progbits
	.p2align	6, 0x0
	.amdhsa_kernel _ZN4vllm17activation_kernelIN3c108BFloat16ETnPFT_RKS3_EXadL_ZNS_17gelu_quick_kernelIS2_EES3_S5_EELb1ELb1EEEvPS3_PS4_i
		.amdhsa_group_segment_fixed_size 0
		.amdhsa_private_segment_fixed_size 64
		.amdhsa_kernarg_size 280
		.amdhsa_user_sgpr_count 15
		.amdhsa_user_sgpr_dispatch_ptr 0
		.amdhsa_user_sgpr_queue_ptr 0
		.amdhsa_user_sgpr_kernarg_segment_ptr 1
		.amdhsa_user_sgpr_dispatch_id 0
		.amdhsa_user_sgpr_private_segment_size 0
		.amdhsa_wavefront_size32 1
		.amdhsa_uses_dynamic_stack 0
		.amdhsa_enable_private_segment 1
		.amdhsa_system_sgpr_workgroup_id_x 1
		.amdhsa_system_sgpr_workgroup_id_y 0
		.amdhsa_system_sgpr_workgroup_id_z 0
		.amdhsa_system_sgpr_workgroup_info 0
		.amdhsa_system_vgpr_workitem_id 0
		.amdhsa_next_free_vgpr 51
		.amdhsa_next_free_sgpr 34
		.amdhsa_reserve_vcc 1
		.amdhsa_float_round_mode_32 0
		.amdhsa_float_round_mode_16_64 0
		.amdhsa_float_denorm_mode_32 3
		.amdhsa_float_denorm_mode_16_64 3
		.amdhsa_dx10_clamp 1
		.amdhsa_ieee_mode 1
		.amdhsa_fp16_overflow 0
		.amdhsa_workgroup_processor_mode 1
		.amdhsa_memory_ordered 1
		.amdhsa_forward_progress 0
		.amdhsa_shared_vgpr_count 0
		.amdhsa_exception_fp_ieee_invalid_op 0
		.amdhsa_exception_fp_denorm_src 0
		.amdhsa_exception_fp_ieee_div_zero 0
		.amdhsa_exception_fp_ieee_overflow 0
		.amdhsa_exception_fp_ieee_underflow 0
		.amdhsa_exception_fp_ieee_inexact 0
		.amdhsa_exception_int_div_zero 0
	.end_amdhsa_kernel
	.section	.text._ZN4vllm17activation_kernelIN3c108BFloat16ETnPFT_RKS3_EXadL_ZNS_17gelu_quick_kernelIS2_EES3_S5_EELb1ELb1EEEvPS3_PS4_i,"axG",@progbits,_ZN4vllm17activation_kernelIN3c108BFloat16ETnPFT_RKS3_EXadL_ZNS_17gelu_quick_kernelIS2_EES3_S5_EELb1ELb1EEEvPS3_PS4_i,comdat
.Lfunc_end79:
	.size	_ZN4vllm17activation_kernelIN3c108BFloat16ETnPFT_RKS3_EXadL_ZNS_17gelu_quick_kernelIS2_EES3_S5_EELb1ELb1EEEvPS3_PS4_i, .Lfunc_end79-_ZN4vllm17activation_kernelIN3c108BFloat16ETnPFT_RKS3_EXadL_ZNS_17gelu_quick_kernelIS2_EES3_S5_EELb1ELb1EEEvPS3_PS4_i
                                        ; -- End function
	.section	.AMDGPU.csdata,"",@progbits
; Kernel info:
; codeLenInByte = 156
; NumSgprs: 36
; NumVgprs: 51
; ScratchSize: 64
; MemoryBound: 0
; FloatMode: 240
; IeeeMode: 1
; LDSByteSize: 0 bytes/workgroup (compile time only)
; SGPRBlocks: 4
; VGPRBlocks: 6
; NumSGPRsForWavesPerEU: 36
; NumVGPRsForWavesPerEU: 51
; Occupancy: 16
; WaveLimiterHint : 1
; COMPUTE_PGM_RSRC2:SCRATCH_EN: 1
; COMPUTE_PGM_RSRC2:USER_SGPR: 15
; COMPUTE_PGM_RSRC2:TRAP_HANDLER: 0
; COMPUTE_PGM_RSRC2:TGID_X_EN: 1
; COMPUTE_PGM_RSRC2:TGID_Y_EN: 0
; COMPUTE_PGM_RSRC2:TGID_Z_EN: 0
; COMPUTE_PGM_RSRC2:TIDIG_COMP_CNT: 0
	.section	.text._ZN4vllm17activation_kernelIfTnPFT_RKS1_EXadL_ZNS_17gelu_quick_kernelIfEES1_S3_EELb1ELb0EEEvPS1_PS2_i,"axG",@progbits,_ZN4vllm17activation_kernelIfTnPFT_RKS1_EXadL_ZNS_17gelu_quick_kernelIfEES1_S3_EELb1ELb0EEEvPS1_PS2_i,comdat
	.protected	_ZN4vllm17activation_kernelIfTnPFT_RKS1_EXadL_ZNS_17gelu_quick_kernelIfEES1_S3_EELb1ELb0EEEvPS1_PS2_i ; -- Begin function _ZN4vllm17activation_kernelIfTnPFT_RKS1_EXadL_ZNS_17gelu_quick_kernelIfEES1_S3_EELb1ELb0EEEvPS1_PS2_i
	.globl	_ZN4vllm17activation_kernelIfTnPFT_RKS1_EXadL_ZNS_17gelu_quick_kernelIfEES1_S3_EELb1ELb0EEEvPS1_PS2_i
	.p2align	8
	.type	_ZN4vllm17activation_kernelIfTnPFT_RKS1_EXadL_ZNS_17gelu_quick_kernelIfEES1_S3_EELb1ELb0EEEvPS1_PS2_i,@function
_ZN4vllm17activation_kernelIfTnPFT_RKS1_EXadL_ZNS_17gelu_quick_kernelIfEES1_S3_EELb1ELb0EEEvPS1_PS2_i: ; @_ZN4vllm17activation_kernelIfTnPFT_RKS1_EXadL_ZNS_17gelu_quick_kernelIfEES1_S3_EELb1ELb0EEEvPS1_PS2_i
; %bb.0:
	s_load_b32 s2, s[0:1], 0x10
	s_waitcnt lgkmcnt(0)
	s_ashr_i32 s3, s2, 31
	s_delay_alu instid0(SALU_CYCLE_1) | instskip(NEXT) | instid1(SALU_CYCLE_1)
	s_lshr_b32 s3, s3, 30
	s_add_i32 s3, s2, s3
	s_delay_alu instid0(SALU_CYCLE_1)
	s_ashr_i32 s6, s3, 2
	s_mov_b32 s3, exec_lo
	v_cmpx_gt_i32_e64 s6, v0
	s_cbranch_execz .LBB80_3
; %bb.1:
	s_clause 0x1
	s_load_b32 s3, s[0:1], 0x24
	s_load_b128 s[8:11], s[0:1], 0x0
	v_lshlrev_b32_e32 v1, 4, v0
	s_mul_i32 s4, s15, s2
	s_mov_b32 s5, 0
	s_delay_alu instid0(SALU_CYCLE_1)
	s_lshl_b64 s[0:1], s[4:5], 2
	s_delay_alu instid0(VALU_DEP_1) | instid1(SALU_CYCLE_1)
	v_add_co_u32 v1, s0, v1, s0
	s_delay_alu instid0(VALU_DEP_1) | instskip(SKIP_2) | instid1(SALU_CYCLE_1)
	v_add_co_ci_u32_e64 v2, null, 0, s1, s0
	s_waitcnt lgkmcnt(0)
	s_and_b32 s7, s3, 0xffff
	s_lshl_b32 s12, s7, 4
.LBB80_2:                               ; =>This Inner Loop Header: Depth=1
	v_add_co_u32 v3, vcc_lo, s10, v1
	v_add_co_ci_u32_e32 v4, vcc_lo, s11, v2, vcc_lo
	v_add_co_u32 v7, vcc_lo, s8, v1
	v_add_co_ci_u32_e32 v8, vcc_lo, s9, v2, vcc_lo
	global_load_b128 v[3:6], v[3:4], off
	v_add_nc_u32_e32 v0, s7, v0
	v_add_co_u32 v1, s0, v1, s12
	s_waitcnt vmcnt(0)
	v_dual_mul_f32 v9, 0xbfd9db23, v3 :: v_dual_mul_f32 v10, 0xbfd9db23, v4
	v_mul_f32_e32 v11, 0xbfd9db23, v5
	v_cmp_le_i32_e64 s1, s6, v0
	s_delay_alu instid0(VALU_DEP_3) | instskip(SKIP_3) | instid1(VALU_DEP_4)
	v_dual_mul_f32 v13, 0x3fb8aa3b, v9 :: v_dual_mul_f32 v14, 0x3fb8aa3b, v10
	v_cmp_ngt_f32_e32 vcc_lo, 0xc2ce8ed0, v10
	v_cmp_ngt_f32_e64 s4, 0xc2ce8ed0, v9
	v_cmp_ngt_f32_e64 s2, 0xc2ce8ed0, v11
	v_fma_f32 v17, 0x3fb8aa3b, v9, -v13
	v_rndne_f32_e32 v18, v13
	v_rndne_f32_e32 v20, v14
	v_fma_f32 v19, 0x3fb8aa3b, v10, -v14
	s_or_b32 s5, s1, s5
	v_fmac_f32_e32 v17, 0x32a5705f, v9
	s_delay_alu instid0(VALU_DEP_3) | instskip(SKIP_3) | instid1(VALU_DEP_4)
	v_dual_sub_f32 v13, v13, v18 :: v_dual_sub_f32 v14, v14, v20
	v_mul_f32_e32 v12, 0xbfd9db23, v6
	v_cvt_i32_f32_e32 v20, v20
	v_cvt_i32_f32_e32 v18, v18
	v_add_f32_e32 v13, v13, v17
	s_delay_alu instid0(VALU_DEP_4) | instskip(SKIP_1) | instid1(VALU_DEP_3)
	v_dual_mul_f32 v15, 0x3fb8aa3b, v11 :: v_dual_mul_f32 v16, 0x3fb8aa3b, v12
	v_cmp_ngt_f32_e64 s3, 0xc2ce8ed0, v12
	v_exp_f32_e32 v13, v13
	s_delay_alu instid0(VALU_DEP_2) | instskip(NEXT) | instid1(VALU_DEP_3)
	v_rndne_f32_e32 v22, v15
	v_fma_f32 v23, 0x3fb8aa3b, v12, -v16
	v_rndne_f32_e32 v24, v16
	v_fma_f32 v21, 0x3fb8aa3b, v11, -v15
	s_delay_alu instid0(VALU_DEP_3) | instskip(NEXT) | instid1(VALU_DEP_3)
	v_fmac_f32_e32 v23, 0x32a5705f, v12
	v_dual_sub_f32 v16, v16, v24 :: v_dual_fmac_f32 v19, 0x32a5705f, v10
	v_cvt_i32_f32_e32 v24, v24
	s_delay_alu instid0(TRANS32_DEP_1) | instskip(NEXT) | instid1(VALU_DEP_3)
	v_ldexp_f32 v13, v13, v18
	v_dual_add_f32 v16, v16, v23 :: v_dual_sub_f32 v15, v15, v22
	s_delay_alu instid0(VALU_DEP_4) | instskip(SKIP_1) | instid1(VALU_DEP_4)
	v_add_f32_e32 v14, v14, v19
	v_cvt_i32_f32_e32 v22, v22
	v_cndmask_b32_e64 v13, 0, v13, s4
	s_delay_alu instid0(VALU_DEP_4) | instskip(SKIP_2) | instid1(VALU_DEP_1)
	v_exp_f32_e32 v16, v16
	v_cmp_nlt_f32_e64 s4, 0x42b17218, v9
	v_exp_f32_e32 v14, v14
	v_cndmask_b32_e64 v9, 0x7f800000, v13, s4
	s_waitcnt_depctr 0xfff
	v_ldexp_f32 v16, v16, v24
	v_ldexp_f32 v14, v14, v20
	s_delay_alu instid0(VALU_DEP_1) | instskip(SKIP_1) | instid1(VALU_DEP_2)
	v_dual_fmac_f32 v21, 0x32a5705f, v11 :: v_dual_cndmask_b32 v14, 0, v14
	v_cmp_nlt_f32_e32 vcc_lo, 0x42b17218, v10
	v_add_f32_e32 v15, v15, v21
	s_delay_alu instid0(VALU_DEP_1) | instskip(SKIP_2) | instid1(VALU_DEP_1)
	v_exp_f32_e32 v15, v15
	s_waitcnt_depctr 0xfff
	v_ldexp_f32 v15, v15, v22
	v_cndmask_b32_e64 v10, 0, v15, s2
	v_cmp_nlt_f32_e64 s2, 0x42b17218, v11
	v_cndmask_b32_e64 v11, 0, v16, s3
	v_cmp_nlt_f32_e64 s3, 0x42b17218, v12
	v_dual_cndmask_b32 v12, 0x7f800000, v14 :: v_dual_add_f32 v9, 1.0, v9
	s_delay_alu instid0(VALU_DEP_4) | instskip(NEXT) | instid1(VALU_DEP_3)
	v_cndmask_b32_e64 v10, 0x7f800000, v10, s2
	v_cndmask_b32_e64 v11, 0x7f800000, v11, s3
	s_delay_alu instid0(VALU_DEP_3) | instskip(NEXT) | instid1(VALU_DEP_4)
	v_add_f32_e32 v12, 1.0, v12
	v_div_scale_f32 v13, null, v9, v9, v3
	s_delay_alu instid0(VALU_DEP_4) | instskip(SKIP_1) | instid1(VALU_DEP_4)
	v_add_f32_e32 v10, 1.0, v10
	v_div_scale_f32 v14, vcc_lo, v3, v9, v3
	v_div_scale_f32 v15, null, v12, v12, v4
	s_delay_alu instid0(VALU_DEP_3) | instskip(SKIP_1) | instid1(VALU_DEP_2)
	v_div_scale_f32 v17, null, v10, v10, v5
	v_rcp_f32_e32 v21, v13
	v_rcp_f32_e32 v22, v15
	v_div_scale_f32 v16, s2, v4, v12, v4
	s_delay_alu instid0(VALU_DEP_2) | instskip(SKIP_1) | instid1(TRANS32_DEP_3)
	v_rcp_f32_e32 v23, v17
	v_div_scale_f32 v18, s3, v5, v10, v5
	v_fma_f32 v25, -v13, v21, 1.0
	s_waitcnt_depctr 0xfff
	v_fma_f32 v26, -v15, v22, 1.0
	v_add_f32_e32 v11, 1.0, v11
	v_fma_f32 v27, -v17, v23, 1.0
	s_delay_alu instid0(VALU_DEP_3) | instskip(NEXT) | instid1(VALU_DEP_3)
	v_fmac_f32_e32 v22, v26, v22
	v_div_scale_f32 v19, null, v11, v11, v6
	v_div_scale_f32 v20, s4, v6, v11, v6
	s_delay_alu instid0(VALU_DEP_3) | instskip(NEXT) | instid1(VALU_DEP_3)
	v_dual_fmac_f32 v23, v27, v23 :: v_dual_mul_f32 v26, v16, v22
	v_rcp_f32_e32 v24, v19
	s_delay_alu instid0(VALU_DEP_1) | instskip(NEXT) | instid1(VALU_DEP_1)
	v_fma_f32 v30, -v15, v26, v16
	v_fmac_f32_e32 v26, v30, v22
	s_waitcnt_depctr 0xfff
	v_fma_f32 v28, -v19, v24, 1.0
	s_delay_alu instid0(VALU_DEP_1) | instskip(NEXT) | instid1(VALU_DEP_1)
	v_dual_fmac_f32 v21, v25, v21 :: v_dual_fmac_f32 v24, v28, v24
	v_dual_mul_f32 v25, v14, v21 :: v_dual_mul_f32 v28, v20, v24
	s_delay_alu instid0(VALU_DEP_1) | instskip(NEXT) | instid1(VALU_DEP_2)
	v_fma_f32 v29, -v13, v25, v14
	v_fma_f32 v32, -v19, v28, v20
	v_mul_f32_e32 v27, v18, v23
	s_delay_alu instid0(VALU_DEP_2) | instskip(NEXT) | instid1(VALU_DEP_2)
	v_dual_fmac_f32 v25, v29, v21 :: v_dual_fmac_f32 v28, v32, v24
	v_fma_f32 v31, -v17, v27, v18
	s_delay_alu instid0(VALU_DEP_2) | instskip(SKIP_1) | instid1(VALU_DEP_4)
	v_fma_f32 v13, -v13, v25, v14
	v_fma_f32 v14, -v15, v26, v16
	;; [unrolled: 1-line block ×3, first 2 shown]
	s_delay_alu instid0(VALU_DEP_4) | instskip(NEXT) | instid1(VALU_DEP_4)
	v_fmac_f32_e32 v27, v31, v23
	v_div_fmas_f32 v13, v13, v21, v25
	s_mov_b32 vcc_lo, s2
	v_div_fmas_f32 v14, v14, v22, v26
	s_delay_alu instid0(VALU_DEP_3) | instskip(SKIP_2) | instid1(VALU_DEP_3)
	v_fma_f32 v15, -v17, v27, v18
	s_mov_b32 vcc_lo, s3
	v_div_fixup_f32 v3, v13, v9, v3
	v_div_fixup_f32 v4, v14, v12, v4
	s_delay_alu instid0(VALU_DEP_3) | instskip(SKIP_3) | instid1(VALU_DEP_3)
	v_div_fmas_f32 v15, v15, v23, v27
	s_mov_b32 vcc_lo, s4
	v_div_fmas_f32 v16, v16, v24, v28
	v_add_co_ci_u32_e64 v2, vcc_lo, 0, v2, s0
	v_div_fixup_f32 v5, v15, v10, v5
	s_delay_alu instid0(VALU_DEP_3)
	v_div_fixup_f32 v6, v16, v11, v6
	global_store_b128 v[7:8], v[3:6], off
	s_and_not1_b32 exec_lo, exec_lo, s5
	s_cbranch_execnz .LBB80_2
.LBB80_3:
	s_nop 0
	s_sendmsg sendmsg(MSG_DEALLOC_VGPRS)
	s_endpgm
	.section	.rodata,"a",@progbits
	.p2align	6, 0x0
	.amdhsa_kernel _ZN4vllm17activation_kernelIfTnPFT_RKS1_EXadL_ZNS_17gelu_quick_kernelIfEES1_S3_EELb1ELb0EEEvPS1_PS2_i
		.amdhsa_group_segment_fixed_size 0
		.amdhsa_private_segment_fixed_size 0
		.amdhsa_kernarg_size 280
		.amdhsa_user_sgpr_count 15
		.amdhsa_user_sgpr_dispatch_ptr 0
		.amdhsa_user_sgpr_queue_ptr 0
		.amdhsa_user_sgpr_kernarg_segment_ptr 1
		.amdhsa_user_sgpr_dispatch_id 0
		.amdhsa_user_sgpr_private_segment_size 0
		.amdhsa_wavefront_size32 1
		.amdhsa_uses_dynamic_stack 0
		.amdhsa_enable_private_segment 0
		.amdhsa_system_sgpr_workgroup_id_x 1
		.amdhsa_system_sgpr_workgroup_id_y 0
		.amdhsa_system_sgpr_workgroup_id_z 0
		.amdhsa_system_sgpr_workgroup_info 0
		.amdhsa_system_vgpr_workitem_id 0
		.amdhsa_next_free_vgpr 33
		.amdhsa_next_free_sgpr 16
		.amdhsa_reserve_vcc 1
		.amdhsa_float_round_mode_32 0
		.amdhsa_float_round_mode_16_64 0
		.amdhsa_float_denorm_mode_32 3
		.amdhsa_float_denorm_mode_16_64 3
		.amdhsa_dx10_clamp 1
		.amdhsa_ieee_mode 1
		.amdhsa_fp16_overflow 0
		.amdhsa_workgroup_processor_mode 1
		.amdhsa_memory_ordered 1
		.amdhsa_forward_progress 0
		.amdhsa_shared_vgpr_count 0
		.amdhsa_exception_fp_ieee_invalid_op 0
		.amdhsa_exception_fp_denorm_src 0
		.amdhsa_exception_fp_ieee_div_zero 0
		.amdhsa_exception_fp_ieee_overflow 0
		.amdhsa_exception_fp_ieee_underflow 0
		.amdhsa_exception_fp_ieee_inexact 0
		.amdhsa_exception_int_div_zero 0
	.end_amdhsa_kernel
	.section	.text._ZN4vllm17activation_kernelIfTnPFT_RKS1_EXadL_ZNS_17gelu_quick_kernelIfEES1_S3_EELb1ELb0EEEvPS1_PS2_i,"axG",@progbits,_ZN4vllm17activation_kernelIfTnPFT_RKS1_EXadL_ZNS_17gelu_quick_kernelIfEES1_S3_EELb1ELb0EEEvPS1_PS2_i,comdat
.Lfunc_end80:
	.size	_ZN4vllm17activation_kernelIfTnPFT_RKS1_EXadL_ZNS_17gelu_quick_kernelIfEES1_S3_EELb1ELb0EEEvPS1_PS2_i, .Lfunc_end80-_ZN4vllm17activation_kernelIfTnPFT_RKS1_EXadL_ZNS_17gelu_quick_kernelIfEES1_S3_EELb1ELb0EEEvPS1_PS2_i
                                        ; -- End function
	.section	.AMDGPU.csdata,"",@progbits
; Kernel info:
; codeLenInByte = 1068
; NumSgprs: 18
; NumVgprs: 33
; ScratchSize: 0
; MemoryBound: 0
; FloatMode: 240
; IeeeMode: 1
; LDSByteSize: 0 bytes/workgroup (compile time only)
; SGPRBlocks: 2
; VGPRBlocks: 4
; NumSGPRsForWavesPerEU: 18
; NumVGPRsForWavesPerEU: 33
; Occupancy: 16
; WaveLimiterHint : 0
; COMPUTE_PGM_RSRC2:SCRATCH_EN: 0
; COMPUTE_PGM_RSRC2:USER_SGPR: 15
; COMPUTE_PGM_RSRC2:TRAP_HANDLER: 0
; COMPUTE_PGM_RSRC2:TGID_X_EN: 1
; COMPUTE_PGM_RSRC2:TGID_Y_EN: 0
; COMPUTE_PGM_RSRC2:TGID_Z_EN: 0
; COMPUTE_PGM_RSRC2:TIDIG_COMP_CNT: 0
	.section	.text._ZN4vllm17activation_kernelIN3c104HalfETnPFT_RKS3_EXadL_ZNS_17gelu_quick_kernelIS2_EES3_S5_EELb1ELb0EEEvPS3_PS4_i,"axG",@progbits,_ZN4vllm17activation_kernelIN3c104HalfETnPFT_RKS3_EXadL_ZNS_17gelu_quick_kernelIS2_EES3_S5_EELb1ELb0EEEvPS3_PS4_i,comdat
	.protected	_ZN4vllm17activation_kernelIN3c104HalfETnPFT_RKS3_EXadL_ZNS_17gelu_quick_kernelIS2_EES3_S5_EELb1ELb0EEEvPS3_PS4_i ; -- Begin function _ZN4vllm17activation_kernelIN3c104HalfETnPFT_RKS3_EXadL_ZNS_17gelu_quick_kernelIS2_EES3_S5_EELb1ELb0EEEvPS3_PS4_i
	.globl	_ZN4vllm17activation_kernelIN3c104HalfETnPFT_RKS3_EXadL_ZNS_17gelu_quick_kernelIS2_EES3_S5_EELb1ELb0EEEvPS3_PS4_i
	.p2align	8
	.type	_ZN4vllm17activation_kernelIN3c104HalfETnPFT_RKS3_EXadL_ZNS_17gelu_quick_kernelIS2_EES3_S5_EELb1ELb0EEEvPS3_PS4_i,@function
_ZN4vllm17activation_kernelIN3c104HalfETnPFT_RKS3_EXadL_ZNS_17gelu_quick_kernelIS2_EES3_S5_EELb1ELb0EEEvPS3_PS4_i: ; @_ZN4vllm17activation_kernelIN3c104HalfETnPFT_RKS3_EXadL_ZNS_17gelu_quick_kernelIS2_EES3_S5_EELb1ELb0EEEvPS3_PS4_i
; %bb.0:
	s_load_b32 s2, s[0:1], 0x10
	s_waitcnt lgkmcnt(0)
	s_ashr_i32 s3, s2, 31
	s_delay_alu instid0(SALU_CYCLE_1) | instskip(NEXT) | instid1(SALU_CYCLE_1)
	s_lshr_b32 s3, s3, 29
	s_add_i32 s3, s2, s3
	s_delay_alu instid0(SALU_CYCLE_1)
	s_ashr_i32 s12, s3, 3
	s_mov_b32 s3, exec_lo
	v_cmpx_gt_i32_e64 s12, v0
	s_cbranch_execz .LBB81_3
; %bb.1:
	s_clause 0x1
	s_load_b128 s[4:7], s[0:1], 0x0
	s_load_b32 s0, s[0:1], 0x24
	v_lshlrev_b32_e32 v3, 4, v0
	s_mul_i32 s8, s15, s2
	s_mov_b32 s9, 0
	s_delay_alu instid0(SALU_CYCLE_1) | instskip(SKIP_2) | instid1(VALU_DEP_1)
	s_lshl_b64 s[10:11], s[8:9], 1
	s_waitcnt lgkmcnt(0)
	v_add_co_u32 v1, s1, s4, v3
	v_add_co_ci_u32_e64 v2, null, s5, 0, s1
	v_add_co_u32 v3, s1, s6, v3
	s_delay_alu instid0(VALU_DEP_1) | instskip(SKIP_1) | instid1(SALU_CYCLE_1)
	v_add_co_ci_u32_e64 v4, null, s7, 0, s1
	s_and_b32 s13, s0, 0xffff
	s_lshl_b32 s14, s13, 4
.LBB81_2:                               ; =>This Inner Loop Header: Depth=1
	s_delay_alu instid0(VALU_DEP_2) | instskip(NEXT) | instid1(VALU_DEP_2)
	v_add_co_u32 v5, vcc_lo, v3, s10
	v_add_co_ci_u32_e32 v6, vcc_lo, s11, v4, vcc_lo
	v_add_co_u32 v9, vcc_lo, v1, s10
	v_add_co_ci_u32_e32 v10, vcc_lo, s11, v2, vcc_lo
	global_load_b128 v[5:8], v[5:6], off
	v_add_co_u32 v1, vcc_lo, v1, s14
	v_add_co_ci_u32_e32 v2, vcc_lo, 0, v2, vcc_lo
	v_add_co_u32 v3, s0, v3, s14
	s_waitcnt vmcnt(0)
	v_lshrrev_b32_e32 v12, 16, v6
	v_lshrrev_b32_e32 v13, 16, v7
	v_cvt_f32_f16_e32 v6, v6
	v_cvt_f32_f16_e32 v7, v7
	v_lshrrev_b32_e32 v11, 16, v5
	v_cvt_f32_f16_e32 v5, v5
	v_lshrrev_b32_e32 v14, 16, v8
	s_delay_alu instid0(VALU_DEP_4) | instskip(NEXT) | instid1(VALU_DEP_3)
	v_dual_mul_f32 v16, 0xbfd9db23, v6 :: v_dual_mul_f32 v17, 0xbfd9db23, v7
	v_dual_mul_f32 v15, 0xbfd9db23, v5 :: v_dual_add_nc_u32 v0, s13, v0
	v_cvt_f32_f16_e32 v12, v12
	s_delay_alu instid0(VALU_DEP_4) | instskip(NEXT) | instid1(VALU_DEP_4)
	v_cvt_f32_f16_e32 v14, v14
	v_mul_f32_e32 v23, 0x3fb8aa3b, v17
	v_cvt_f32_f16_e32 v8, v8
	v_cvt_f32_f16_e32 v11, v11
	v_cmp_ngt_f32_e32 vcc_lo, 0xc2ce8ed0, v16
	v_mul_f32_e32 v26, 0xbfd9db23, v14
	v_rndne_f32_e32 v34, v23
	v_mul_f32_e32 v21, 0x3fb8aa3b, v16
	v_mul_f32_e32 v22, 0xbfd9db23, v12
	v_fma_f32 v33, 0x3fb8aa3b, v17, -v23
	v_mul_f32_e32 v38, 0x3fb8aa3b, v26
	v_sub_f32_e32 v23, v23, v34
	s_delay_alu instid0(VALU_DEP_4) | instskip(SKIP_3) | instid1(VALU_DEP_4)
	v_dual_mul_f32 v19, 0x3fb8aa3b, v15 :: v_dual_mul_f32 v32, 0x3fb8aa3b, v22
	v_fma_f32 v30, 0x3fb8aa3b, v16, -v21
	v_rndne_f32_e32 v31, v21
	v_mul_f32_e32 v18, 0xbfd9db23, v8
	v_fma_f32 v27, 0x3fb8aa3b, v15, -v19
	v_fma_f32 v41, 0x3fb8aa3b, v22, -v32
	s_delay_alu instid0(VALU_DEP_4) | instskip(SKIP_1) | instid1(VALU_DEP_4)
	v_dual_fmac_f32 v30, 0x32a5705f, v16 :: v_dual_sub_f32 v21, v21, v31
	v_rndne_f32_e32 v42, v32
	v_fmac_f32_e32 v27, 0x32a5705f, v15
	s_delay_alu instid0(VALU_DEP_4) | instskip(SKIP_4) | instid1(VALU_DEP_4)
	v_fmac_f32_e32 v41, 0x32a5705f, v22
	v_rndne_f32_e32 v28, v19
	v_add_f32_e32 v21, v21, v30
	v_sub_f32_e32 v30, v32, v42
	v_mul_f32_e32 v25, 0x3fb8aa3b, v18
	v_dual_mul_f32 v20, 0xbfd9db23, v11 :: v_dual_sub_f32 v19, v19, v28
	s_delay_alu instid0(VALU_DEP_4) | instskip(NEXT) | instid1(VALU_DEP_3)
	v_exp_f32_e32 v21, v21
	v_add_f32_e32 v30, v30, v41
	s_delay_alu instid0(VALU_DEP_3) | instskip(SKIP_4) | instid1(VALU_DEP_4)
	v_fma_f32 v36, 0x3fb8aa3b, v18, -v25
	v_rndne_f32_e32 v37, v25
	v_fmac_f32_e32 v33, 0x32a5705f, v17
	v_cvt_i32_f32_e32 v31, v31
	v_cvt_i32_f32_e32 v34, v34
	v_dual_fmac_f32 v36, 0x32a5705f, v18 :: v_dual_sub_f32 v25, v25, v37
	s_delay_alu instid0(VALU_DEP_4)
	v_add_f32_e32 v23, v23, v33
	v_cvt_i32_f32_e32 v37, v37
	v_rndne_f32_e32 v46, v38
	v_mul_f32_e32 v29, 0x3fb8aa3b, v20
	v_add_f32_e32 v25, v25, v36
	v_exp_f32_e32 v23, v23
	v_ldexp_f32 v21, v21, v31
	v_cmp_ngt_f32_e64 s2, 0xc2ce8ed0, v17
	v_cmp_ngt_f32_e64 s3, 0xc2ce8ed0, v18
	v_exp_f32_e32 v25, v25
	v_cvt_f32_f16_e32 v13, v13
	v_sub_f32_e32 v36, v38, v46
	v_fma_f32 v39, 0x3fb8aa3b, v20, -v29
	v_rndne_f32_e32 v40, v29
	v_cndmask_b32_e32 v21, 0, v21, vcc_lo
	v_ldexp_f32 v23, v23, v34
	v_cmp_nlt_f32_e32 vcc_lo, 0x42b17218, v16
	v_dual_mul_f32 v24, 0xbfd9db23, v13 :: v_dual_add_f32 v19, v19, v27
	s_delay_alu instid0(TRANS32_DEP_1) | instskip(NEXT) | instid1(VALU_DEP_4)
	v_ldexp_f32 v25, v25, v37
	v_cndmask_b32_e64 v23, 0, v23, s2
	v_cmp_nlt_f32_e64 s2, 0x42b17218, v17
	v_cmp_ngt_f32_e64 s5, 0xc2ce8ed0, v22
	v_cndmask_b32_e32 v21, 0x7f800000, v21, vcc_lo
	v_cndmask_b32_e64 v25, 0, v25, s3
	v_cmp_nlt_f32_e64 s3, 0x42b17218, v18
	v_fmac_f32_e32 v39, 0x32a5705f, v20
	v_cmp_nlt_f32_e32 vcc_lo, 0x42b17218, v22
	v_cndmask_b32_e64 v22, 0x7f800000, v23, s2
	v_exp_f32_e32 v19, v19
	v_cndmask_b32_e64 v23, 0x7f800000, v25, s3
	v_sub_f32_e32 v27, v29, v40
	v_cvt_i32_f32_e32 v28, v28
	v_cvt_i32_f32_e32 v29, v40
	v_cmp_ngt_f32_e64 s4, 0xc2ce8ed0, v15
	v_cmp_nlt_f32_e64 s8, 0x42b17218, v15
	v_add_f32_e32 v27, v27, v39
	v_fma_f32 v45, 0x3fb8aa3b, v26, -v38
	v_cvt_i32_f32_e32 v38, v46
	v_ldexp_f32 v19, v19, v28
	v_cmp_ngt_f32_e64 s7, 0xc2ce8ed0, v26
	v_exp_f32_e32 v27, v27
	v_cmp_nlt_f32_e64 s3, 0x42b17218, v26
	v_exp_f32_e32 v30, v30
	v_cndmask_b32_e64 v19, 0, v19, s4
	v_cmp_ngt_f32_e64 s4, 0xc2ce8ed0, v20
	v_cvt_i32_f32_e32 v32, v42
	v_cmp_ngt_f32_e64 s6, 0xc2ce8ed0, v24
	v_cmp_nlt_f32_e64 s2, 0x42b17218, v24
	v_cndmask_b32_e64 v15, 0x7f800000, v19, s8
	v_cmp_le_i32_e64 s1, s12, v0
	v_ldexp_f32 v27, v27, v29
	s_delay_alu instid0(TRANS32_DEP_1) | instskip(NEXT) | instid1(VALU_DEP_3)
	v_ldexp_f32 v16, v30, v32
	s_or_b32 s9, s1, s9
	s_delay_alu instid0(VALU_DEP_2) | instskip(SKIP_4) | instid1(VALU_DEP_4)
	v_cndmask_b32_e64 v19, 0, v27, s4
	v_cmp_nlt_f32_e64 s4, 0x42b17218, v20
	v_dual_add_f32 v20, 1.0, v21 :: v_dual_add_f32 v21, 1.0, v22
	v_add_f32_e32 v22, 1.0, v23
	v_cndmask_b32_e64 v16, 0, v16, s5
	v_cndmask_b32_e64 v19, 0x7f800000, v19, s4
	s_delay_alu instid0(VALU_DEP_4) | instskip(NEXT) | instid1(VALU_DEP_4)
	v_div_scale_f32 v25, null, v20, v20, v6
	v_div_scale_f32 v29, null, v22, v22, v8
	;; [unrolled: 1-line block ×3, first 2 shown]
	s_delay_alu instid0(VALU_DEP_3) | instskip(NEXT) | instid1(VALU_DEP_2)
	v_rcp_f32_e32 v34, v25
	v_rcp_f32_e32 v40, v29
	v_cndmask_b32_e32 v16, 0x7f800000, v16, vcc_lo
	s_delay_alu instid0(VALU_DEP_2) | instskip(SKIP_1) | instid1(VALU_DEP_2)
	v_rcp_f32_e32 v37, v27
	v_div_scale_f32 v30, s4, v8, v22, v8
	v_add_f32_e32 v16, 1.0, v16
	s_delay_alu instid0(TRANS32_DEP_3)
	v_fma_f32 v48, -v25, v34, 1.0
	s_waitcnt_depctr 0xfff
	v_fma_f32 v50, -v29, v40, 1.0
	v_fmac_f32_e32 v45, 0x32a5705f, v26
	v_fma_f32 v49, -v27, v37, 1.0
	v_fmac_f32_e32 v34, v48, v34
	s_delay_alu instid0(VALU_DEP_4) | instskip(NEXT) | instid1(VALU_DEP_4)
	v_fmac_f32_e32 v40, v50, v40
	v_dual_mul_f32 v35, 0x3fb8aa3b, v24 :: v_dual_add_f32 v36, v36, v45
	s_delay_alu instid0(VALU_DEP_4) | instskip(NEXT) | instid1(VALU_DEP_2)
	v_fmac_f32_e32 v37, v49, v37
	v_fma_f32 v43, 0x3fb8aa3b, v24, -v35
	s_delay_alu instid0(VALU_DEP_3) | instskip(SKIP_1) | instid1(VALU_DEP_2)
	v_exp_f32_e32 v36, v36
	v_rndne_f32_e32 v44, v35
	v_fmac_f32_e32 v43, 0x32a5705f, v24
	s_waitcnt_depctr 0xfff
	v_ldexp_f32 v18, v36, v38
	s_delay_alu instid0(VALU_DEP_1) | instskip(NEXT) | instid1(VALU_DEP_1)
	v_cndmask_b32_e64 v18, 0, v18, s7
	v_cndmask_b32_e64 v18, 0x7f800000, v18, s3
	v_div_scale_f32 v28, s3, v7, v21, v7
	v_sub_f32_e32 v33, v35, v44
	v_cvt_i32_f32_e32 v35, v44
	s_delay_alu instid0(VALU_DEP_2) | instskip(NEXT) | instid1(VALU_DEP_1)
	v_dual_add_f32 v18, 1.0, v18 :: v_dual_add_f32 v33, v33, v43
	v_div_scale_f32 v41, null, v18, v18, v14
	v_div_scale_f32 v42, s8, v14, v18, v14
	s_delay_alu instid0(VALU_DEP_3) | instskip(NEXT) | instid1(VALU_DEP_2)
	v_exp_f32_e32 v33, v33
	v_rcp_f32_e32 v46, v41
	s_waitcnt_depctr 0xfff
	v_ldexp_f32 v17, v33, v35
	v_div_scale_f32 v35, null, v16, v16, v12
	v_fma_f32 v50, -v41, v46, 1.0
	s_delay_alu instid0(VALU_DEP_3) | instskip(NEXT) | instid1(VALU_DEP_3)
	v_cndmask_b32_e64 v17, 0, v17, s6
	v_rcp_f32_e32 v44, v35
	v_div_scale_f32 v36, s6, v12, v16, v12
	s_delay_alu instid0(VALU_DEP_3) | instskip(NEXT) | instid1(VALU_DEP_3)
	v_fmac_f32_e32 v46, v50, v46
	v_cndmask_b32_e64 v17, 0x7f800000, v17, s2
	v_div_scale_f32 v26, s2, v6, v20, v6
	s_delay_alu instid0(VALU_DEP_2) | instskip(SKIP_4) | instid1(VALU_DEP_3)
	v_dual_mul_f32 v58, v42, v46 :: v_dual_add_f32 v17, 1.0, v17
	s_waitcnt_depctr 0xfff
	v_fma_f32 v48, -v35, v44, 1.0
	v_div_scale_f32 v38, null, v17, v17, v13
	v_div_scale_f32 v39, s7, v13, v17, v13
	v_fmac_f32_e32 v44, v48, v44
	s_delay_alu instid0(VALU_DEP_3) | instskip(SKIP_1) | instid1(VALU_DEP_2)
	v_rcp_f32_e32 v45, v38
	v_mul_f32_e32 v48, v28, v37
	v_dual_mul_f32 v54, v36, v44 :: v_dual_add_f32 v19, 1.0, v19
	s_delay_alu instid0(VALU_DEP_2) | instskip(SKIP_4) | instid1(VALU_DEP_3)
	v_fma_f32 v55, -v27, v48, v28
	s_waitcnt_depctr 0xfff
	v_fma_f32 v49, -v38, v45, 1.0
	v_div_scale_f32 v32, null, v19, v19, v11
	v_fmac_f32_e32 v48, v55, v37
	v_fmac_f32_e32 v45, v49, v45
	v_add_f32_e32 v15, 1.0, v15
	s_delay_alu instid0(VALU_DEP_4) | instskip(NEXT) | instid1(VALU_DEP_2)
	v_rcp_f32_e32 v43, v32
	v_dual_mul_f32 v49, v30, v40 :: v_dual_mul_f32 v56, v39, v45
	s_delay_alu instid0(VALU_DEP_2) | instskip(NEXT) | instid1(VALU_DEP_2)
	v_div_scale_f32 v23, null, v15, v15, v5
	v_fma_f32 v57, -v29, v49, v30
	v_div_scale_f32 v24, vcc_lo, v5, v15, v5
	s_delay_alu instid0(VALU_DEP_3) | instskip(SKIP_1) | instid1(VALU_DEP_3)
	v_rcp_f32_e32 v31, v23
	v_fma_f32 v55, -v38, v56, v39
	v_fmac_f32_e32 v49, v57, v40
	v_fma_f32 v57, -v41, v58, v42
	s_delay_alu instid0(VALU_DEP_3) | instskip(NEXT) | instid1(VALU_DEP_2)
	v_fmac_f32_e32 v56, v55, v45
	v_fmac_f32_e32 v58, v57, v46
	s_waitcnt_depctr 0xfff
	v_fma_f32 v47, -v23, v31, 1.0
	s_delay_alu instid0(VALU_DEP_1) | instskip(SKIP_1) | instid1(VALU_DEP_2)
	v_fmac_f32_e32 v31, v47, v31
	v_fma_f32 v47, -v32, v43, 1.0
	v_mul_f32_e32 v51, v24, v31
	s_delay_alu instid0(VALU_DEP_2) | instskip(SKIP_1) | instid1(VALU_DEP_3)
	v_fmac_f32_e32 v43, v47, v43
	v_mul_f32_e32 v47, v26, v34
	v_fma_f32 v50, -v23, v51, v24
	s_delay_alu instid0(VALU_DEP_2) | instskip(NEXT) | instid1(VALU_DEP_2)
	v_fma_f32 v53, -v25, v47, v26
	v_fmac_f32_e32 v51, v50, v31
	s_delay_alu instid0(VALU_DEP_2) | instskip(SKIP_1) | instid1(VALU_DEP_3)
	v_fmac_f32_e32 v47, v53, v34
	v_fma_f32 v53, -v35, v54, v36
	v_fma_f32 v23, -v23, v51, v24
	s_delay_alu instid0(VALU_DEP_3) | instskip(NEXT) | instid1(VALU_DEP_3)
	v_fma_f32 v24, -v25, v47, v26
	v_fmac_f32_e32 v54, v53, v44
	v_div_scale_f32 v33, s5, v11, v19, v11
	v_fma_f32 v25, -v27, v48, v28
	v_div_fmas_f32 v23, v23, v31, v51
	s_mov_b32 vcc_lo, s5
	s_delay_alu instid0(VALU_DEP_3)
	v_mul_f32_e32 v52, v33, v43
	v_fma_f32 v28, -v35, v54, v36
	v_fma_f32 v26, -v29, v49, v30
	v_div_fixup_f32 v5, v23, v15, v5
	v_fma_f32 v29, -v38, v56, v39
	v_fma_f32 v50, -v32, v52, v33
	;; [unrolled: 1-line block ×3, first 2 shown]
	s_delay_alu instid0(VALU_DEP_4) | instskip(NEXT) | instid1(VALU_DEP_3)
	v_cvt_f16_f32_e32 v5, v5
	v_fmac_f32_e32 v52, v50, v43
	s_delay_alu instid0(VALU_DEP_1) | instskip(NEXT) | instid1(VALU_DEP_1)
	v_fma_f32 v27, -v32, v52, v33
	v_div_fmas_f32 v15, v27, v43, v52
	s_mov_b32 vcc_lo, s2
	v_div_fmas_f32 v23, v24, v34, v47
	s_mov_b32 vcc_lo, s6
	s_delay_alu instid0(VALU_DEP_2)
	v_div_fixup_f32 v11, v15, v19, v11
	v_div_fmas_f32 v24, v28, v44, v54
	s_mov_b32 vcc_lo, s3
	v_div_fixup_f32 v6, v23, v20, v6
	v_div_fmas_f32 v15, v25, v37, v48
	s_mov_b32 vcc_lo, s7
	;; [unrolled: 3-line block ×4, first 2 shown]
	v_div_fixup_f32 v13, v19, v17, v13
	v_div_fmas_f32 v15, v30, v46, v58
	v_cvt_f16_f32_e32 v11, v11
	v_div_fixup_f32 v8, v16, v22, v8
	v_cvt_f16_f32_e32 v6, v6
	v_cvt_f16_f32_e32 v12, v12
	v_div_fixup_f32 v14, v15, v18, v14
	v_cvt_f16_f32_e32 v7, v7
	v_cvt_f16_f32_e32 v13, v13
	;; [unrolled: 1-line block ×3, first 2 shown]
	v_pack_b32_f16 v5, v5, v11
	v_cvt_f16_f32_e32 v14, v14
	v_pack_b32_f16 v6, v6, v12
	v_pack_b32_f16 v7, v7, v13
	v_add_co_ci_u32_e64 v4, vcc_lo, 0, v4, s0
	s_delay_alu instid0(VALU_DEP_4)
	v_pack_b32_f16 v8, v8, v14
	global_store_b128 v[9:10], v[5:8], off
	s_and_not1_b32 exec_lo, exec_lo, s9
	s_cbranch_execnz .LBB81_2
.LBB81_3:
	s_nop 0
	s_sendmsg sendmsg(MSG_DEALLOC_VGPRS)
	s_endpgm
	.section	.rodata,"a",@progbits
	.p2align	6, 0x0
	.amdhsa_kernel _ZN4vllm17activation_kernelIN3c104HalfETnPFT_RKS3_EXadL_ZNS_17gelu_quick_kernelIS2_EES3_S5_EELb1ELb0EEEvPS3_PS4_i
		.amdhsa_group_segment_fixed_size 0
		.amdhsa_private_segment_fixed_size 0
		.amdhsa_kernarg_size 280
		.amdhsa_user_sgpr_count 15
		.amdhsa_user_sgpr_dispatch_ptr 0
		.amdhsa_user_sgpr_queue_ptr 0
		.amdhsa_user_sgpr_kernarg_segment_ptr 1
		.amdhsa_user_sgpr_dispatch_id 0
		.amdhsa_user_sgpr_private_segment_size 0
		.amdhsa_wavefront_size32 1
		.amdhsa_uses_dynamic_stack 0
		.amdhsa_enable_private_segment 0
		.amdhsa_system_sgpr_workgroup_id_x 1
		.amdhsa_system_sgpr_workgroup_id_y 0
		.amdhsa_system_sgpr_workgroup_id_z 0
		.amdhsa_system_sgpr_workgroup_info 0
		.amdhsa_system_vgpr_workitem_id 0
		.amdhsa_next_free_vgpr 59
		.amdhsa_next_free_sgpr 16
		.amdhsa_reserve_vcc 1
		.amdhsa_float_round_mode_32 0
		.amdhsa_float_round_mode_16_64 0
		.amdhsa_float_denorm_mode_32 3
		.amdhsa_float_denorm_mode_16_64 3
		.amdhsa_dx10_clamp 1
		.amdhsa_ieee_mode 1
		.amdhsa_fp16_overflow 0
		.amdhsa_workgroup_processor_mode 1
		.amdhsa_memory_ordered 1
		.amdhsa_forward_progress 0
		.amdhsa_shared_vgpr_count 0
		.amdhsa_exception_fp_ieee_invalid_op 0
		.amdhsa_exception_fp_denorm_src 0
		.amdhsa_exception_fp_ieee_div_zero 0
		.amdhsa_exception_fp_ieee_overflow 0
		.amdhsa_exception_fp_ieee_underflow 0
		.amdhsa_exception_fp_ieee_inexact 0
		.amdhsa_exception_int_div_zero 0
	.end_amdhsa_kernel
	.section	.text._ZN4vllm17activation_kernelIN3c104HalfETnPFT_RKS3_EXadL_ZNS_17gelu_quick_kernelIS2_EES3_S5_EELb1ELb0EEEvPS3_PS4_i,"axG",@progbits,_ZN4vllm17activation_kernelIN3c104HalfETnPFT_RKS3_EXadL_ZNS_17gelu_quick_kernelIS2_EES3_S5_EELb1ELb0EEEvPS3_PS4_i,comdat
.Lfunc_end81:
	.size	_ZN4vllm17activation_kernelIN3c104HalfETnPFT_RKS3_EXadL_ZNS_17gelu_quick_kernelIS2_EES3_S5_EELb1ELb0EEEvPS3_PS4_i, .Lfunc_end81-_ZN4vllm17activation_kernelIN3c104HalfETnPFT_RKS3_EXadL_ZNS_17gelu_quick_kernelIS2_EES3_S5_EELb1ELb0EEEvPS3_PS4_i
                                        ; -- End function
	.section	.AMDGPU.csdata,"",@progbits
; Kernel info:
; codeLenInByte = 2020
; NumSgprs: 18
; NumVgprs: 59
; ScratchSize: 0
; MemoryBound: 0
; FloatMode: 240
; IeeeMode: 1
; LDSByteSize: 0 bytes/workgroup (compile time only)
; SGPRBlocks: 2
; VGPRBlocks: 7
; NumSGPRsForWavesPerEU: 18
; NumVGPRsForWavesPerEU: 59
; Occupancy: 16
; WaveLimiterHint : 0
; COMPUTE_PGM_RSRC2:SCRATCH_EN: 0
; COMPUTE_PGM_RSRC2:USER_SGPR: 15
; COMPUTE_PGM_RSRC2:TRAP_HANDLER: 0
; COMPUTE_PGM_RSRC2:TGID_X_EN: 1
; COMPUTE_PGM_RSRC2:TGID_Y_EN: 0
; COMPUTE_PGM_RSRC2:TGID_Z_EN: 0
; COMPUTE_PGM_RSRC2:TIDIG_COMP_CNT: 0
	.section	.text._ZN4vllm17activation_kernelIN3c108BFloat16ETnPFT_RKS3_EXadL_ZNS_17gelu_quick_kernelIS2_EES3_S5_EELb1ELb0EEEvPS3_PS4_i,"axG",@progbits,_ZN4vllm17activation_kernelIN3c108BFloat16ETnPFT_RKS3_EXadL_ZNS_17gelu_quick_kernelIS2_EES3_S5_EELb1ELb0EEEvPS3_PS4_i,comdat
	.protected	_ZN4vllm17activation_kernelIN3c108BFloat16ETnPFT_RKS3_EXadL_ZNS_17gelu_quick_kernelIS2_EES3_S5_EELb1ELb0EEEvPS3_PS4_i ; -- Begin function _ZN4vllm17activation_kernelIN3c108BFloat16ETnPFT_RKS3_EXadL_ZNS_17gelu_quick_kernelIS2_EES3_S5_EELb1ELb0EEEvPS3_PS4_i
	.globl	_ZN4vllm17activation_kernelIN3c108BFloat16ETnPFT_RKS3_EXadL_ZNS_17gelu_quick_kernelIS2_EES3_S5_EELb1ELb0EEEvPS3_PS4_i
	.p2align	8
	.type	_ZN4vllm17activation_kernelIN3c108BFloat16ETnPFT_RKS3_EXadL_ZNS_17gelu_quick_kernelIS2_EES3_S5_EELb1ELb0EEEvPS3_PS4_i,@function
_ZN4vllm17activation_kernelIN3c108BFloat16ETnPFT_RKS3_EXadL_ZNS_17gelu_quick_kernelIS2_EES3_S5_EELb1ELb0EEEvPS3_PS4_i: ; @_ZN4vllm17activation_kernelIN3c108BFloat16ETnPFT_RKS3_EXadL_ZNS_17gelu_quick_kernelIS2_EES3_S5_EELb1ELb0EEEvPS3_PS4_i
; %bb.0:
	s_load_b32 s3, s[0:1], 0x10
	s_waitcnt lgkmcnt(0)
	s_ashr_i32 s2, s3, 31
	s_delay_alu instid0(SALU_CYCLE_1) | instskip(NEXT) | instid1(SALU_CYCLE_1)
	s_lshr_b32 s2, s2, 29
	s_add_i32 s2, s3, s2
	s_delay_alu instid0(SALU_CYCLE_1)
	s_ashr_i32 s9, s2, 3
	s_mov_b32 s2, exec_lo
	v_cmpx_gt_i32_e64 s9, v0
	s_cbranch_execz .LBB82_8
; %bb.1:
	s_clause 0x1
	s_load_b32 s2, s[0:1], 0x24
	s_load_b128 s[16:19], s[0:1], 0x0
	s_mov_b32 s1, 0
	s_waitcnt lgkmcnt(0)
	s_and_b32 s10, s2, 0xffff
	s_delay_alu instid0(SALU_CYCLE_1)
	v_cvt_f32_u32_e32 v1, s10
	s_cmp_eq_u32 s10, 1
	v_add_nc_u32_e32 v3, s10, v0
	s_cselect_b32 s4, -1, 0
	s_sub_i32 s2, 0, s10
	v_rcp_iflag_f32_e32 v1, v1
	s_delay_alu instid0(VALU_DEP_1) | instskip(SKIP_3) | instid1(VALU_DEP_1)
	v_cmp_gt_i32_e32 vcc_lo, s9, v3
	v_max_i32_e32 v4, s9, v3
	s_waitcnt_depctr 0xfff
	v_mul_f32_e32 v1, 0x4f7ffffe, v1
	v_cvt_u32_f32_e32 v1, v1
	s_delay_alu instid0(VALU_DEP_1) | instskip(SKIP_1) | instid1(VALU_DEP_1)
	v_mul_lo_u32 v2, s2, v1
	v_add_co_ci_u32_e64 v3, s2, s10, v0, vcc_lo
	v_sub_nc_u32_e32 v3, v4, v3
	s_delay_alu instid0(VALU_DEP_3) | instskip(NEXT) | instid1(VALU_DEP_1)
	v_mul_hi_u32 v2, v1, v2
	v_add_nc_u32_e32 v1, v1, v2
	s_delay_alu instid0(VALU_DEP_1) | instskip(NEXT) | instid1(VALU_DEP_1)
	v_mul_hi_u32 v1, v3, v1
	v_mul_lo_u32 v2, v1, s10
	s_delay_alu instid0(VALU_DEP_1) | instskip(SKIP_1) | instid1(VALU_DEP_2)
	v_sub_nc_u32_e32 v2, v3, v2
	v_add_nc_u32_e32 v3, 1, v1
	v_subrev_nc_u32_e32 v4, s10, v2
	v_cmp_le_u32_e64 s2, s10, v2
	s_delay_alu instid0(VALU_DEP_1) | instskip(NEXT) | instid1(VALU_DEP_3)
	v_cndmask_b32_e64 v1, v1, v3, s2
	v_cndmask_b32_e64 v2, v2, v4, s2
	s_delay_alu instid0(VALU_DEP_2) | instskip(NEXT) | instid1(VALU_DEP_2)
	v_add_nc_u32_e32 v3, 1, v1
	v_cmp_le_u32_e64 s0, s10, v2
	s_delay_alu instid0(VALU_DEP_1) | instskip(SKIP_2) | instid1(VALU_DEP_1)
	v_cndmask_b32_e64 v1, v1, v3, s0
	s_mul_i32 s0, s15, s3
	s_mov_b32 s3, -1
	v_add_co_ci_u32_e32 v16, vcc_lo, 1, v1, vcc_lo
	s_delay_alu instid0(VALU_DEP_1) | instskip(SKIP_1) | instid1(SALU_CYCLE_1)
	v_cmp_lt_u32_e32 vcc_lo, 1, v16
	s_and_b32 s4, vcc_lo, s4
	s_and_saveexec_b32 s2, s4
	s_cbranch_execz .LBB82_5
; %bb.2:
	v_add_nc_u32_e32 v1, 1, v0
	v_and_b32_e32 v17, -2, v16
	s_lshl_b64 s[6:7], s[0:1], 1
	v_mov_b32_e32 v9, 0
	s_add_u32 s3, s18, s6
	v_dual_mov_b32 v11, v1 :: v_dual_mov_b32 v10, v0
	v_mov_b32_e32 v18, v17
	s_addc_u32 s4, s19, s7
	s_add_u32 s5, s16, s6
	s_addc_u32 s7, s17, s7
	s_mov_b32 s6, s1
.LBB82_3:                               ; =>This Inner Loop Header: Depth=1
	v_mov_b32_e32 v8, v10
	v_add_nc_u32_e32 v10, 2, v10
	v_add_nc_u32_e32 v18, -2, v18
	s_delay_alu instid0(VALU_DEP_3) | instskip(SKIP_1) | instid1(VALU_DEP_1)
	v_lshlrev_b64 v[12:13], 4, v[8:9]
	v_dual_mov_b32 v8, v11 :: v_dual_add_nc_u32 v11, 2, v11
	v_lshlrev_b64 v[14:15], 4, v[8:9]
	s_delay_alu instid0(VALU_DEP_3) | instskip(NEXT) | instid1(VALU_DEP_4)
	v_add_co_u32 v1, vcc_lo, s3, v12
	v_add_co_ci_u32_e32 v2, vcc_lo, s4, v13, vcc_lo
	s_delay_alu instid0(VALU_DEP_3) | instskip(NEXT) | instid1(VALU_DEP_4)
	v_add_co_u32 v5, vcc_lo, s3, v14
	v_add_co_ci_u32_e32 v6, vcc_lo, s4, v15, vcc_lo
	s_clause 0x1
	global_load_b128 v[1:4], v[1:2], off
	global_load_b128 v[5:8], v[5:6], off
	s_waitcnt vmcnt(1)
	v_lshlrev_b32_e32 v19, 16, v1
	v_and_b32_e32 v1, 0xffff0000, v1
	s_delay_alu instid0(VALU_DEP_2) | instskip(SKIP_3) | instid1(VALU_DEP_3)
	v_mul_f32_e32 v22, 0xbfd9db23, v19
	s_waitcnt vmcnt(0)
	v_lshlrev_b32_e32 v20, 16, v5
	v_and_b32_e32 v5, 0xffff0000, v5
	v_mul_f32_e32 v23, 0x3fb8aa3b, v22
	s_delay_alu instid0(VALU_DEP_3) | instskip(NEXT) | instid1(VALU_DEP_2)
	v_mul_f32_e32 v21, 0xbfd9db23, v20
	v_fma_f32 v24, 0x3fb8aa3b, v22, -v23
	v_rndne_f32_e32 v25, v23
	s_delay_alu instid0(VALU_DEP_1) | instskip(SKIP_1) | instid1(VALU_DEP_4)
	v_sub_f32_e32 v23, v23, v25
	v_cmp_ngt_f32_e32 vcc_lo, 0xc2ce8ed0, v22
	v_fmac_f32_e32 v24, 0x32a5705f, v22
	s_delay_alu instid0(VALU_DEP_1) | instskip(SKIP_1) | instid1(VALU_DEP_2)
	v_add_f32_e32 v23, v23, v24
	v_cvt_i32_f32_e32 v24, v25
	v_exp_f32_e32 v23, v23
	s_waitcnt_depctr 0xfff
	v_ldexp_f32 v23, v23, v24
	s_delay_alu instid0(VALU_DEP_1) | instskip(SKIP_1) | instid1(VALU_DEP_2)
	v_cndmask_b32_e32 v23, 0, v23, vcc_lo
	v_cmp_nlt_f32_e32 vcc_lo, 0x42b17218, v22
	v_cndmask_b32_e32 v22, 0x7f800000, v23, vcc_lo
	v_mul_f32_e32 v23, 0x3fb8aa3b, v21
	v_cmp_ngt_f32_e32 vcc_lo, 0xc2ce8ed0, v21
	s_delay_alu instid0(VALU_DEP_2) | instskip(SKIP_1) | instid1(VALU_DEP_2)
	v_fma_f32 v24, 0x3fb8aa3b, v21, -v23
	v_rndne_f32_e32 v25, v23
	v_fmac_f32_e32 v24, 0x32a5705f, v21
	s_delay_alu instid0(VALU_DEP_2) | instskip(NEXT) | instid1(VALU_DEP_1)
	v_dual_sub_f32 v23, v23, v25 :: v_dual_add_f32 v22, 1.0, v22
	v_add_f32_e32 v23, v23, v24
	v_cvt_i32_f32_e32 v24, v25
	s_delay_alu instid0(VALU_DEP_2) | instskip(SKIP_2) | instid1(VALU_DEP_1)
	v_exp_f32_e32 v23, v23
	s_waitcnt_depctr 0xfff
	v_ldexp_f32 v23, v23, v24
	v_cndmask_b32_e32 v23, 0, v23, vcc_lo
	v_cmp_nlt_f32_e32 vcc_lo, 0x42b17218, v21
	s_delay_alu instid0(VALU_DEP_2) | instskip(SKIP_1) | instid1(VALU_DEP_1)
	v_cndmask_b32_e32 v21, 0x7f800000, v23, vcc_lo
	v_div_scale_f32 v23, null, v22, v22, v19
	v_rcp_f32_e32 v24, v23
	s_waitcnt_depctr 0xfff
	v_fma_f32 v25, -v23, v24, 1.0
	s_delay_alu instid0(VALU_DEP_1) | instskip(SKIP_1) | instid1(VALU_DEP_1)
	v_fmac_f32_e32 v24, v25, v24
	v_div_scale_f32 v25, vcc_lo, v19, v22, v19
	v_mul_f32_e32 v26, v25, v24
	s_delay_alu instid0(VALU_DEP_1) | instskip(NEXT) | instid1(VALU_DEP_1)
	v_fma_f32 v27, -v23, v26, v25
	v_dual_add_f32 v21, 1.0, v21 :: v_dual_fmac_f32 v26, v27, v24
	s_delay_alu instid0(VALU_DEP_1) | instskip(NEXT) | instid1(VALU_DEP_1)
	v_fma_f32 v23, -v23, v26, v25
	v_div_fmas_f32 v23, v23, v24, v26
	s_delay_alu instid0(VALU_DEP_1) | instskip(NEXT) | instid1(VALU_DEP_4)
	v_div_fixup_f32 v22, v23, v22, v19
	v_div_scale_f32 v19, null, v21, v21, v20
	s_delay_alu instid0(VALU_DEP_1) | instskip(SKIP_2) | instid1(VALU_DEP_1)
	v_rcp_f32_e32 v23, v19
	s_waitcnt_depctr 0xfff
	v_fma_f32 v24, -v19, v23, 1.0
	v_fmac_f32_e32 v23, v24, v23
	v_div_scale_f32 v24, vcc_lo, v20, v21, v20
	s_delay_alu instid0(VALU_DEP_1) | instskip(NEXT) | instid1(VALU_DEP_1)
	v_mul_f32_e32 v25, v24, v23
	v_fma_f32 v26, -v19, v25, v24
	s_delay_alu instid0(VALU_DEP_1) | instskip(NEXT) | instid1(VALU_DEP_1)
	v_fmac_f32_e32 v25, v26, v23
	v_fma_f32 v19, -v19, v25, v24
	s_delay_alu instid0(VALU_DEP_1) | instskip(NEXT) | instid1(VALU_DEP_1)
	v_div_fmas_f32 v19, v19, v23, v25
	v_div_fixup_f32 v19, v19, v21, v20
	v_bfe_u32 v21, v22, 16, 1
	s_delay_alu instid0(VALU_DEP_2) | instskip(SKIP_1) | instid1(VALU_DEP_3)
	v_bfe_u32 v20, v19, 16, 1
	v_cmp_o_f32_e32 vcc_lo, v19, v19
	v_add3_u32 v21, v22, v21, 0x7fff
	s_delay_alu instid0(VALU_DEP_3) | instskip(NEXT) | instid1(VALU_DEP_2)
	v_add3_u32 v20, v19, v20, 0x7fff
	v_lshrrev_b32_e32 v21, 16, v21
	s_delay_alu instid0(VALU_DEP_2) | instskip(NEXT) | instid1(VALU_DEP_1)
	v_lshrrev_b32_e32 v20, 16, v20
	v_cndmask_b32_e32 v19, 0x7fc0, v20, vcc_lo
	v_cmp_o_f32_e32 vcc_lo, v22, v22
	v_mul_f32_e32 v22, 0xbfd9db23, v1
	v_cndmask_b32_e32 v20, 0x7fc0, v21, vcc_lo
	s_delay_alu instid0(VALU_DEP_2) | instskip(SKIP_2) | instid1(VALU_DEP_3)
	v_mul_f32_e32 v23, 0x3fb8aa3b, v22
	v_cmp_ngt_f32_e32 vcc_lo, 0xc2ce8ed0, v22
	v_mul_f32_e32 v21, 0xbfd9db23, v5
	v_fma_f32 v24, 0x3fb8aa3b, v22, -v23
	v_rndne_f32_e32 v25, v23
	s_delay_alu instid0(VALU_DEP_1) | instskip(NEXT) | instid1(VALU_DEP_1)
	v_dual_fmac_f32 v24, 0x32a5705f, v22 :: v_dual_sub_f32 v23, v23, v25
	v_add_f32_e32 v23, v23, v24
	v_cvt_i32_f32_e32 v24, v25
	s_delay_alu instid0(VALU_DEP_2) | instskip(SKIP_2) | instid1(VALU_DEP_1)
	v_exp_f32_e32 v23, v23
	s_waitcnt_depctr 0xfff
	v_ldexp_f32 v23, v23, v24
	v_cndmask_b32_e32 v23, 0, v23, vcc_lo
	v_cmp_nlt_f32_e32 vcc_lo, 0x42b17218, v22
	s_delay_alu instid0(VALU_DEP_2) | instskip(SKIP_2) | instid1(VALU_DEP_2)
	v_cndmask_b32_e32 v22, 0x7f800000, v23, vcc_lo
	v_mul_f32_e32 v23, 0x3fb8aa3b, v21
	v_cmp_ngt_f32_e32 vcc_lo, 0xc2ce8ed0, v21
	v_fma_f32 v24, 0x3fb8aa3b, v21, -v23
	v_rndne_f32_e32 v25, v23
	s_delay_alu instid0(VALU_DEP_2) | instskip(NEXT) | instid1(VALU_DEP_2)
	v_fmac_f32_e32 v24, 0x32a5705f, v21
	v_dual_sub_f32 v23, v23, v25 :: v_dual_add_f32 v22, 1.0, v22
	s_delay_alu instid0(VALU_DEP_1) | instskip(SKIP_1) | instid1(VALU_DEP_2)
	v_add_f32_e32 v23, v23, v24
	v_cvt_i32_f32_e32 v24, v25
	v_exp_f32_e32 v23, v23
	s_waitcnt_depctr 0xfff
	v_ldexp_f32 v23, v23, v24
	s_delay_alu instid0(VALU_DEP_1) | instskip(SKIP_1) | instid1(VALU_DEP_2)
	v_cndmask_b32_e32 v23, 0, v23, vcc_lo
	v_cmp_nlt_f32_e32 vcc_lo, 0x42b17218, v21
	v_cndmask_b32_e32 v21, 0x7f800000, v23, vcc_lo
	v_div_scale_f32 v23, null, v22, v22, v1
	s_delay_alu instid0(VALU_DEP_2) | instskip(NEXT) | instid1(VALU_DEP_2)
	v_add_f32_e32 v21, 1.0, v21
	v_rcp_f32_e32 v24, v23
	s_waitcnt_depctr 0xfff
	v_fma_f32 v25, -v23, v24, 1.0
	s_delay_alu instid0(VALU_DEP_1) | instskip(SKIP_1) | instid1(VALU_DEP_1)
	v_fmac_f32_e32 v24, v25, v24
	v_div_scale_f32 v25, vcc_lo, v1, v22, v1
	v_mul_f32_e32 v26, v25, v24
	s_delay_alu instid0(VALU_DEP_1) | instskip(NEXT) | instid1(VALU_DEP_1)
	v_fma_f32 v27, -v23, v26, v25
	v_fmac_f32_e32 v26, v27, v24
	s_delay_alu instid0(VALU_DEP_1) | instskip(NEXT) | instid1(VALU_DEP_1)
	v_fma_f32 v23, -v23, v26, v25
	v_div_fmas_f32 v23, v23, v24, v26
	s_delay_alu instid0(VALU_DEP_1) | instskip(SKIP_1) | instid1(VALU_DEP_1)
	v_div_fixup_f32 v22, v23, v22, v1
	v_div_scale_f32 v1, null, v21, v21, v5
	v_rcp_f32_e32 v23, v1
	s_waitcnt_depctr 0xfff
	v_fma_f32 v24, -v1, v23, 1.0
	s_delay_alu instid0(VALU_DEP_1) | instskip(SKIP_1) | instid1(VALU_DEP_1)
	v_fmac_f32_e32 v23, v24, v23
	v_div_scale_f32 v24, vcc_lo, v5, v21, v5
	v_mul_f32_e32 v25, v24, v23
	s_delay_alu instid0(VALU_DEP_1) | instskip(NEXT) | instid1(VALU_DEP_1)
	v_fma_f32 v26, -v1, v25, v24
	v_fmac_f32_e32 v25, v26, v23
	s_delay_alu instid0(VALU_DEP_1) | instskip(NEXT) | instid1(VALU_DEP_1)
	v_fma_f32 v1, -v1, v25, v24
	v_div_fmas_f32 v1, v1, v23, v25
	s_delay_alu instid0(VALU_DEP_1) | instskip(SKIP_1) | instid1(VALU_DEP_2)
	v_div_fixup_f32 v1, v1, v21, v5
	v_bfe_u32 v21, v22, 16, 1
	v_bfe_u32 v5, v1, 16, 1
	s_delay_alu instid0(VALU_DEP_2) | instskip(SKIP_1) | instid1(VALU_DEP_3)
	v_add3_u32 v21, v22, v21, 0x7fff
	v_cmp_o_f32_e32 vcc_lo, v1, v1
	v_add3_u32 v5, v1, v5, 0x7fff
	s_delay_alu instid0(VALU_DEP_3) | instskip(NEXT) | instid1(VALU_DEP_2)
	v_lshrrev_b32_e32 v21, 16, v21
	v_lshrrev_b32_e32 v5, 16, v5
	s_delay_alu instid0(VALU_DEP_1)
	v_cndmask_b32_e32 v1, 0x7fc0, v5, vcc_lo
	v_cmp_o_f32_e32 vcc_lo, v22, v22
	v_lshlrev_b32_e32 v22, 16, v6
	v_and_b32_e32 v6, 0xffff0000, v6
	v_cndmask_b32_e32 v5, 0x7fc0, v21, vcc_lo
	v_lshlrev_b32_e32 v21, 16, v2
	s_delay_alu instid0(VALU_DEP_4) | instskip(SKIP_1) | instid1(VALU_DEP_3)
	v_mul_f32_e32 v23, 0xbfd9db23, v22
	v_and_b32_e32 v2, 0xffff0000, v2
	v_mul_f32_e32 v24, 0xbfd9db23, v21
	s_delay_alu instid0(VALU_DEP_1) | instskip(SKIP_1) | instid1(VALU_DEP_2)
	v_mul_f32_e32 v25, 0x3fb8aa3b, v24
	v_cmp_ngt_f32_e32 vcc_lo, 0xc2ce8ed0, v24
	v_fma_f32 v26, 0x3fb8aa3b, v24, -v25
	v_rndne_f32_e32 v27, v25
	s_delay_alu instid0(VALU_DEP_1) | instskip(NEXT) | instid1(VALU_DEP_1)
	v_dual_fmac_f32 v26, 0x32a5705f, v24 :: v_dual_sub_f32 v25, v25, v27
	v_add_f32_e32 v25, v25, v26
	v_cvt_i32_f32_e32 v26, v27
	s_delay_alu instid0(VALU_DEP_2) | instskip(SKIP_2) | instid1(VALU_DEP_1)
	v_exp_f32_e32 v25, v25
	s_waitcnt_depctr 0xfff
	v_ldexp_f32 v25, v25, v26
	v_cndmask_b32_e32 v25, 0, v25, vcc_lo
	v_cmp_nlt_f32_e32 vcc_lo, 0x42b17218, v24
	s_delay_alu instid0(VALU_DEP_2) | instskip(SKIP_2) | instid1(VALU_DEP_3)
	v_cndmask_b32_e32 v24, 0x7f800000, v25, vcc_lo
	v_mul_f32_e32 v25, 0x3fb8aa3b, v23
	v_cmp_ngt_f32_e32 vcc_lo, 0xc2ce8ed0, v23
	v_add_f32_e32 v24, 1.0, v24
	s_delay_alu instid0(VALU_DEP_3) | instskip(SKIP_1) | instid1(VALU_DEP_2)
	v_fma_f32 v26, 0x3fb8aa3b, v23, -v25
	v_rndne_f32_e32 v27, v25
	v_fmac_f32_e32 v26, 0x32a5705f, v23
	s_delay_alu instid0(VALU_DEP_2) | instskip(NEXT) | instid1(VALU_DEP_1)
	v_sub_f32_e32 v25, v25, v27
	v_add_f32_e32 v25, v25, v26
	v_cvt_i32_f32_e32 v26, v27
	s_delay_alu instid0(VALU_DEP_2) | instskip(SKIP_2) | instid1(VALU_DEP_1)
	v_exp_f32_e32 v25, v25
	s_waitcnt_depctr 0xfff
	v_ldexp_f32 v25, v25, v26
	v_cndmask_b32_e32 v25, 0, v25, vcc_lo
	v_cmp_nlt_f32_e32 vcc_lo, 0x42b17218, v23
	s_delay_alu instid0(VALU_DEP_2) | instskip(SKIP_1) | instid1(VALU_DEP_2)
	v_cndmask_b32_e32 v23, 0x7f800000, v25, vcc_lo
	v_div_scale_f32 v25, null, v24, v24, v21
	v_add_f32_e32 v23, 1.0, v23
	s_delay_alu instid0(VALU_DEP_2) | instskip(SKIP_2) | instid1(VALU_DEP_1)
	v_rcp_f32_e32 v26, v25
	s_waitcnt_depctr 0xfff
	v_fma_f32 v27, -v25, v26, 1.0
	v_fmac_f32_e32 v26, v27, v26
	v_div_scale_f32 v27, vcc_lo, v21, v24, v21
	s_delay_alu instid0(VALU_DEP_1) | instskip(NEXT) | instid1(VALU_DEP_1)
	v_mul_f32_e32 v28, v27, v26
	v_fma_f32 v29, -v25, v28, v27
	s_delay_alu instid0(VALU_DEP_1) | instskip(NEXT) | instid1(VALU_DEP_1)
	v_fmac_f32_e32 v28, v29, v26
	v_fma_f32 v25, -v25, v28, v27
	s_delay_alu instid0(VALU_DEP_1) | instskip(NEXT) | instid1(VALU_DEP_1)
	v_div_fmas_f32 v25, v25, v26, v28
	v_div_fixup_f32 v24, v25, v24, v21
	v_div_scale_f32 v21, null, v23, v23, v22
	s_delay_alu instid0(VALU_DEP_1) | instskip(SKIP_2) | instid1(VALU_DEP_1)
	v_rcp_f32_e32 v25, v21
	s_waitcnt_depctr 0xfff
	v_fma_f32 v26, -v21, v25, 1.0
	v_fmac_f32_e32 v25, v26, v25
	v_div_scale_f32 v26, vcc_lo, v22, v23, v22
	s_delay_alu instid0(VALU_DEP_1) | instskip(NEXT) | instid1(VALU_DEP_1)
	v_mul_f32_e32 v27, v26, v25
	v_fma_f32 v28, -v21, v27, v26
	s_delay_alu instid0(VALU_DEP_1) | instskip(NEXT) | instid1(VALU_DEP_1)
	v_fmac_f32_e32 v27, v28, v25
	v_fma_f32 v21, -v21, v27, v26
	s_delay_alu instid0(VALU_DEP_1) | instskip(NEXT) | instid1(VALU_DEP_1)
	v_div_fmas_f32 v21, v21, v25, v27
	v_div_fixup_f32 v21, v21, v23, v22
	v_bfe_u32 v23, v24, 16, 1
	s_delay_alu instid0(VALU_DEP_2) | instskip(SKIP_1) | instid1(VALU_DEP_3)
	v_bfe_u32 v22, v21, 16, 1
	v_cmp_o_f32_e32 vcc_lo, v21, v21
	v_add3_u32 v23, v24, v23, 0x7fff
	s_delay_alu instid0(VALU_DEP_3) | instskip(NEXT) | instid1(VALU_DEP_2)
	v_add3_u32 v22, v21, v22, 0x7fff
	v_lshrrev_b32_e32 v23, 16, v23
	s_delay_alu instid0(VALU_DEP_2) | instskip(NEXT) | instid1(VALU_DEP_1)
	v_lshrrev_b32_e32 v22, 16, v22
	v_cndmask_b32_e32 v21, 0x7fc0, v22, vcc_lo
	v_cmp_o_f32_e32 vcc_lo, v24, v24
	v_mul_f32_e32 v24, 0xbfd9db23, v2
	v_cndmask_b32_e32 v22, 0x7fc0, v23, vcc_lo
	s_delay_alu instid0(VALU_DEP_2) | instskip(SKIP_2) | instid1(VALU_DEP_3)
	v_mul_f32_e32 v25, 0x3fb8aa3b, v24
	v_cmp_ngt_f32_e32 vcc_lo, 0xc2ce8ed0, v24
	v_mul_f32_e32 v23, 0xbfd9db23, v6
	v_fma_f32 v26, 0x3fb8aa3b, v24, -v25
	v_rndne_f32_e32 v27, v25
	s_delay_alu instid0(VALU_DEP_1) | instskip(NEXT) | instid1(VALU_DEP_1)
	v_dual_fmac_f32 v26, 0x32a5705f, v24 :: v_dual_sub_f32 v25, v25, v27
	v_add_f32_e32 v25, v25, v26
	v_cvt_i32_f32_e32 v26, v27
	s_delay_alu instid0(VALU_DEP_2) | instskip(SKIP_2) | instid1(VALU_DEP_1)
	v_exp_f32_e32 v25, v25
	s_waitcnt_depctr 0xfff
	v_ldexp_f32 v25, v25, v26
	v_cndmask_b32_e32 v25, 0, v25, vcc_lo
	v_cmp_nlt_f32_e32 vcc_lo, 0x42b17218, v24
	s_delay_alu instid0(VALU_DEP_2) | instskip(SKIP_2) | instid1(VALU_DEP_3)
	v_cndmask_b32_e32 v24, 0x7f800000, v25, vcc_lo
	v_mul_f32_e32 v25, 0x3fb8aa3b, v23
	v_cmp_ngt_f32_e32 vcc_lo, 0xc2ce8ed0, v23
	v_add_f32_e32 v24, 1.0, v24
	s_delay_alu instid0(VALU_DEP_3) | instskip(SKIP_2) | instid1(VALU_DEP_3)
	v_fma_f32 v26, 0x3fb8aa3b, v23, -v25
	v_rndne_f32_e32 v27, v25
	v_perm_b32 v1, v1, v19, 0x5040100
	v_fmac_f32_e32 v26, 0x32a5705f, v23
	s_delay_alu instid0(VALU_DEP_3) | instskip(NEXT) | instid1(VALU_DEP_1)
	v_sub_f32_e32 v25, v25, v27
	v_add_f32_e32 v25, v25, v26
	v_cvt_i32_f32_e32 v26, v27
	s_delay_alu instid0(VALU_DEP_2) | instskip(SKIP_2) | instid1(VALU_DEP_1)
	v_exp_f32_e32 v25, v25
	s_waitcnt_depctr 0xfff
	v_ldexp_f32 v25, v25, v26
	v_cndmask_b32_e32 v25, 0, v25, vcc_lo
	v_cmp_nlt_f32_e32 vcc_lo, 0x42b17218, v23
	s_delay_alu instid0(VALU_DEP_2) | instskip(SKIP_1) | instid1(VALU_DEP_2)
	v_cndmask_b32_e32 v23, 0x7f800000, v25, vcc_lo
	v_div_scale_f32 v25, null, v24, v24, v2
	v_add_f32_e32 v23, 1.0, v23
	s_delay_alu instid0(VALU_DEP_2) | instskip(SKIP_2) | instid1(VALU_DEP_1)
	v_rcp_f32_e32 v26, v25
	s_waitcnt_depctr 0xfff
	v_fma_f32 v27, -v25, v26, 1.0
	v_fmac_f32_e32 v26, v27, v26
	v_div_scale_f32 v27, vcc_lo, v2, v24, v2
	v_perm_b32 v5, v5, v20, 0x5040100
	s_delay_alu instid0(VALU_DEP_2) | instskip(NEXT) | instid1(VALU_DEP_1)
	v_mul_f32_e32 v28, v27, v26
	v_fma_f32 v29, -v25, v28, v27
	s_delay_alu instid0(VALU_DEP_1) | instskip(NEXT) | instid1(VALU_DEP_1)
	v_fmac_f32_e32 v28, v29, v26
	v_fma_f32 v25, -v25, v28, v27
	s_delay_alu instid0(VALU_DEP_1) | instskip(NEXT) | instid1(VALU_DEP_1)
	v_div_fmas_f32 v25, v25, v26, v28
	v_div_fixup_f32 v24, v25, v24, v2
	v_div_scale_f32 v2, null, v23, v23, v6
	s_delay_alu instid0(VALU_DEP_1) | instskip(SKIP_2) | instid1(VALU_DEP_1)
	v_rcp_f32_e32 v25, v2
	s_waitcnt_depctr 0xfff
	v_fma_f32 v26, -v2, v25, 1.0
	v_fmac_f32_e32 v25, v26, v25
	v_div_scale_f32 v26, vcc_lo, v6, v23, v6
	s_delay_alu instid0(VALU_DEP_1) | instskip(NEXT) | instid1(VALU_DEP_1)
	v_mul_f32_e32 v27, v26, v25
	v_fma_f32 v28, -v2, v27, v26
	s_delay_alu instid0(VALU_DEP_1) | instskip(NEXT) | instid1(VALU_DEP_1)
	v_fmac_f32_e32 v27, v28, v25
	v_fma_f32 v2, -v2, v27, v26
	s_delay_alu instid0(VALU_DEP_1) | instskip(NEXT) | instid1(VALU_DEP_1)
	v_div_fmas_f32 v2, v2, v25, v27
	v_div_fixup_f32 v2, v2, v23, v6
	v_bfe_u32 v23, v24, 16, 1
	s_delay_alu instid0(VALU_DEP_2) | instskip(NEXT) | instid1(VALU_DEP_2)
	v_bfe_u32 v6, v2, 16, 1
	v_add3_u32 v23, v24, v23, 0x7fff
	v_cmp_o_f32_e32 vcc_lo, v2, v2
	s_delay_alu instid0(VALU_DEP_3) | instskip(NEXT) | instid1(VALU_DEP_3)
	v_add3_u32 v6, v2, v6, 0x7fff
	v_lshrrev_b32_e32 v23, 16, v23
	s_delay_alu instid0(VALU_DEP_2) | instskip(NEXT) | instid1(VALU_DEP_1)
	v_lshrrev_b32_e32 v6, 16, v6
	v_cndmask_b32_e32 v2, 0x7fc0, v6, vcc_lo
	v_cmp_o_f32_e32 vcc_lo, v24, v24
	v_lshlrev_b32_e32 v24, 16, v7
	v_and_b32_e32 v7, 0xffff0000, v7
	v_cndmask_b32_e32 v6, 0x7fc0, v23, vcc_lo
	v_lshlrev_b32_e32 v23, 16, v3
	s_delay_alu instid0(VALU_DEP_4) | instskip(SKIP_1) | instid1(VALU_DEP_4)
	v_mul_f32_e32 v25, 0xbfd9db23, v24
	v_and_b32_e32 v3, 0xffff0000, v3
	v_perm_b32 v6, v6, v22, 0x5040100
	s_delay_alu instid0(VALU_DEP_4) | instskip(NEXT) | instid1(VALU_DEP_1)
	v_mul_f32_e32 v26, 0xbfd9db23, v23
	v_mul_f32_e32 v27, 0x3fb8aa3b, v26
	v_cmp_ngt_f32_e32 vcc_lo, 0xc2ce8ed0, v26
	s_delay_alu instid0(VALU_DEP_2) | instskip(SKIP_1) | instid1(VALU_DEP_1)
	v_fma_f32 v28, 0x3fb8aa3b, v26, -v27
	v_rndne_f32_e32 v29, v27
	v_dual_fmac_f32 v28, 0x32a5705f, v26 :: v_dual_sub_f32 v27, v27, v29
	s_delay_alu instid0(VALU_DEP_1) | instskip(SKIP_1) | instid1(VALU_DEP_2)
	v_add_f32_e32 v27, v27, v28
	v_cvt_i32_f32_e32 v28, v29
	v_exp_f32_e32 v27, v27
	s_waitcnt_depctr 0xfff
	v_ldexp_f32 v27, v27, v28
	s_delay_alu instid0(VALU_DEP_1) | instskip(SKIP_1) | instid1(VALU_DEP_2)
	v_cndmask_b32_e32 v27, 0, v27, vcc_lo
	v_cmp_nlt_f32_e32 vcc_lo, 0x42b17218, v26
	v_cndmask_b32_e32 v26, 0x7f800000, v27, vcc_lo
	v_mul_f32_e32 v27, 0x3fb8aa3b, v25
	v_cmp_ngt_f32_e32 vcc_lo, 0xc2ce8ed0, v25
	s_delay_alu instid0(VALU_DEP_3) | instskip(NEXT) | instid1(VALU_DEP_3)
	v_add_f32_e32 v26, 1.0, v26
	v_fma_f32 v28, 0x3fb8aa3b, v25, -v27
	v_rndne_f32_e32 v29, v27
	s_delay_alu instid0(VALU_DEP_2) | instskip(NEXT) | instid1(VALU_DEP_2)
	v_fmac_f32_e32 v28, 0x32a5705f, v25
	v_sub_f32_e32 v27, v27, v29
	s_delay_alu instid0(VALU_DEP_1) | instskip(SKIP_1) | instid1(VALU_DEP_2)
	v_add_f32_e32 v27, v27, v28
	v_cvt_i32_f32_e32 v28, v29
	v_exp_f32_e32 v27, v27
	s_waitcnt_depctr 0xfff
	v_ldexp_f32 v27, v27, v28
	s_delay_alu instid0(VALU_DEP_1) | instskip(SKIP_1) | instid1(VALU_DEP_2)
	v_cndmask_b32_e32 v27, 0, v27, vcc_lo
	v_cmp_nlt_f32_e32 vcc_lo, 0x42b17218, v25
	v_cndmask_b32_e32 v25, 0x7f800000, v27, vcc_lo
	v_div_scale_f32 v27, null, v26, v26, v23
	s_delay_alu instid0(VALU_DEP_2) | instskip(NEXT) | instid1(VALU_DEP_2)
	v_add_f32_e32 v25, 1.0, v25
	v_rcp_f32_e32 v28, v27
	s_waitcnt_depctr 0xfff
	v_fma_f32 v29, -v27, v28, 1.0
	s_delay_alu instid0(VALU_DEP_1) | instskip(SKIP_1) | instid1(VALU_DEP_1)
	v_fmac_f32_e32 v28, v29, v28
	v_div_scale_f32 v29, vcc_lo, v23, v26, v23
	v_mul_f32_e32 v30, v29, v28
	s_delay_alu instid0(VALU_DEP_1) | instskip(NEXT) | instid1(VALU_DEP_1)
	v_fma_f32 v31, -v27, v30, v29
	v_fmac_f32_e32 v30, v31, v28
	s_delay_alu instid0(VALU_DEP_1) | instskip(NEXT) | instid1(VALU_DEP_1)
	v_fma_f32 v27, -v27, v30, v29
	v_div_fmas_f32 v27, v27, v28, v30
	s_delay_alu instid0(VALU_DEP_1) | instskip(SKIP_1) | instid1(VALU_DEP_1)
	v_div_fixup_f32 v26, v27, v26, v23
	v_div_scale_f32 v23, null, v25, v25, v24
	v_rcp_f32_e32 v27, v23
	s_waitcnt_depctr 0xfff
	v_fma_f32 v28, -v23, v27, 1.0
	s_delay_alu instid0(VALU_DEP_1) | instskip(SKIP_1) | instid1(VALU_DEP_1)
	v_fmac_f32_e32 v27, v28, v27
	v_div_scale_f32 v28, vcc_lo, v24, v25, v24
	v_mul_f32_e32 v29, v28, v27
	s_delay_alu instid0(VALU_DEP_1) | instskip(NEXT) | instid1(VALU_DEP_1)
	v_fma_f32 v30, -v23, v29, v28
	v_fmac_f32_e32 v29, v30, v27
	s_delay_alu instid0(VALU_DEP_1) | instskip(NEXT) | instid1(VALU_DEP_1)
	v_fma_f32 v23, -v23, v29, v28
	v_div_fmas_f32 v23, v23, v27, v29
	s_delay_alu instid0(VALU_DEP_1) | instskip(SKIP_1) | instid1(VALU_DEP_2)
	v_div_fixup_f32 v23, v23, v25, v24
	v_bfe_u32 v25, v26, 16, 1
	v_bfe_u32 v24, v23, 16, 1
	v_cmp_o_f32_e32 vcc_lo, v23, v23
	s_delay_alu instid0(VALU_DEP_3) | instskip(NEXT) | instid1(VALU_DEP_3)
	v_add3_u32 v25, v26, v25, 0x7fff
	v_add3_u32 v24, v23, v24, 0x7fff
	s_delay_alu instid0(VALU_DEP_2) | instskip(NEXT) | instid1(VALU_DEP_2)
	v_lshrrev_b32_e32 v25, 16, v25
	v_lshrrev_b32_e32 v24, 16, v24
	s_delay_alu instid0(VALU_DEP_1) | instskip(SKIP_3) | instid1(VALU_DEP_2)
	v_cndmask_b32_e32 v23, 0x7fc0, v24, vcc_lo
	v_cmp_o_f32_e32 vcc_lo, v26, v26
	v_mul_f32_e32 v26, 0xbfd9db23, v3
	v_cndmask_b32_e32 v24, 0x7fc0, v25, vcc_lo
	v_mul_f32_e32 v27, 0x3fb8aa3b, v26
	v_cmp_ngt_f32_e32 vcc_lo, 0xc2ce8ed0, v26
	v_mul_f32_e32 v25, 0xbfd9db23, v7
	s_delay_alu instid0(VALU_DEP_3) | instskip(SKIP_1) | instid1(VALU_DEP_1)
	v_fma_f32 v28, 0x3fb8aa3b, v26, -v27
	v_rndne_f32_e32 v29, v27
	v_dual_fmac_f32 v28, 0x32a5705f, v26 :: v_dual_sub_f32 v27, v27, v29
	s_delay_alu instid0(VALU_DEP_1) | instskip(SKIP_1) | instid1(VALU_DEP_2)
	v_add_f32_e32 v27, v27, v28
	v_cvt_i32_f32_e32 v28, v29
	v_exp_f32_e32 v27, v27
	s_waitcnt_depctr 0xfff
	v_ldexp_f32 v27, v27, v28
	s_delay_alu instid0(VALU_DEP_1) | instskip(SKIP_1) | instid1(VALU_DEP_2)
	v_cndmask_b32_e32 v27, 0, v27, vcc_lo
	v_cmp_nlt_f32_e32 vcc_lo, 0x42b17218, v26
	v_cndmask_b32_e32 v26, 0x7f800000, v27, vcc_lo
	v_mul_f32_e32 v27, 0x3fb8aa3b, v25
	v_cmp_ngt_f32_e32 vcc_lo, 0xc2ce8ed0, v25
	s_delay_alu instid0(VALU_DEP_3) | instskip(NEXT) | instid1(VALU_DEP_3)
	v_add_f32_e32 v26, 1.0, v26
	v_fma_f32 v28, 0x3fb8aa3b, v25, -v27
	v_rndne_f32_e32 v29, v27
	s_delay_alu instid0(VALU_DEP_2) | instskip(NEXT) | instid1(VALU_DEP_2)
	v_fmac_f32_e32 v28, 0x32a5705f, v25
	v_sub_f32_e32 v27, v27, v29
	s_delay_alu instid0(VALU_DEP_1) | instskip(SKIP_1) | instid1(VALU_DEP_2)
	v_add_f32_e32 v27, v27, v28
	v_cvt_i32_f32_e32 v28, v29
	v_exp_f32_e32 v27, v27
	s_waitcnt_depctr 0xfff
	v_ldexp_f32 v27, v27, v28
	s_delay_alu instid0(VALU_DEP_1) | instskip(SKIP_1) | instid1(VALU_DEP_2)
	v_cndmask_b32_e32 v27, 0, v27, vcc_lo
	v_cmp_nlt_f32_e32 vcc_lo, 0x42b17218, v25
	v_cndmask_b32_e32 v25, 0x7f800000, v27, vcc_lo
	v_div_scale_f32 v27, null, v26, v26, v3
	s_delay_alu instid0(VALU_DEP_2) | instskip(NEXT) | instid1(VALU_DEP_2)
	v_add_f32_e32 v25, 1.0, v25
	v_rcp_f32_e32 v28, v27
	s_waitcnt_depctr 0xfff
	v_fma_f32 v29, -v27, v28, 1.0
	s_delay_alu instid0(VALU_DEP_1) | instskip(SKIP_2) | instid1(VALU_DEP_2)
	v_fmac_f32_e32 v28, v29, v28
	v_div_scale_f32 v29, vcc_lo, v3, v26, v3
	v_perm_b32 v2, v2, v21, 0x5040100
	v_mul_f32_e32 v30, v29, v28
	s_delay_alu instid0(VALU_DEP_1) | instskip(NEXT) | instid1(VALU_DEP_1)
	v_fma_f32 v31, -v27, v30, v29
	v_fmac_f32_e32 v30, v31, v28
	s_delay_alu instid0(VALU_DEP_1) | instskip(NEXT) | instid1(VALU_DEP_1)
	v_fma_f32 v27, -v27, v30, v29
	v_div_fmas_f32 v27, v27, v28, v30
	s_delay_alu instid0(VALU_DEP_1) | instskip(SKIP_1) | instid1(VALU_DEP_1)
	v_div_fixup_f32 v26, v27, v26, v3
	v_div_scale_f32 v3, null, v25, v25, v7
	v_rcp_f32_e32 v27, v3
	s_waitcnt_depctr 0xfff
	v_fma_f32 v28, -v3, v27, 1.0
	s_delay_alu instid0(VALU_DEP_1) | instskip(SKIP_1) | instid1(VALU_DEP_1)
	v_fmac_f32_e32 v27, v28, v27
	v_div_scale_f32 v28, vcc_lo, v7, v25, v7
	v_mul_f32_e32 v29, v28, v27
	s_delay_alu instid0(VALU_DEP_1) | instskip(NEXT) | instid1(VALU_DEP_1)
	v_fma_f32 v30, -v3, v29, v28
	v_fmac_f32_e32 v29, v30, v27
	s_delay_alu instid0(VALU_DEP_1) | instskip(NEXT) | instid1(VALU_DEP_1)
	v_fma_f32 v3, -v3, v29, v28
	v_div_fmas_f32 v3, v3, v27, v29
	s_delay_alu instid0(VALU_DEP_1) | instskip(SKIP_1) | instid1(VALU_DEP_2)
	v_div_fixup_f32 v3, v3, v25, v7
	v_bfe_u32 v25, v26, 16, 1
	v_bfe_u32 v7, v3, 16, 1
	s_delay_alu instid0(VALU_DEP_2) | instskip(SKIP_1) | instid1(VALU_DEP_3)
	v_add3_u32 v25, v26, v25, 0x7fff
	v_cmp_o_f32_e32 vcc_lo, v3, v3
	v_add3_u32 v7, v3, v7, 0x7fff
	s_delay_alu instid0(VALU_DEP_3) | instskip(NEXT) | instid1(VALU_DEP_2)
	v_lshrrev_b32_e32 v25, 16, v25
	v_lshrrev_b32_e32 v7, 16, v7
	s_delay_alu instid0(VALU_DEP_1) | instskip(SKIP_3) | instid1(VALU_DEP_4)
	v_cndmask_b32_e32 v3, 0x7fc0, v7, vcc_lo
	v_cmp_o_f32_e32 vcc_lo, v26, v26
	v_lshlrev_b32_e32 v26, 16, v8
	v_and_b32_e32 v8, 0xffff0000, v8
	v_perm_b32 v3, v3, v23, 0x5040100
	v_cndmask_b32_e32 v7, 0x7fc0, v25, vcc_lo
	v_lshlrev_b32_e32 v25, 16, v4
	v_mul_f32_e32 v27, 0xbfd9db23, v26
	v_and_b32_e32 v4, 0xffff0000, v4
	s_delay_alu instid0(VALU_DEP_4) | instskip(NEXT) | instid1(VALU_DEP_4)
	v_perm_b32 v7, v7, v24, 0x5040100
	v_mul_f32_e32 v28, 0xbfd9db23, v25
	s_delay_alu instid0(VALU_DEP_1) | instskip(SKIP_1) | instid1(VALU_DEP_2)
	v_mul_f32_e32 v29, 0x3fb8aa3b, v28
	v_cmp_ngt_f32_e32 vcc_lo, 0xc2ce8ed0, v28
	v_fma_f32 v30, 0x3fb8aa3b, v28, -v29
	v_rndne_f32_e32 v31, v29
	s_delay_alu instid0(VALU_DEP_1) | instskip(NEXT) | instid1(VALU_DEP_1)
	v_dual_fmac_f32 v30, 0x32a5705f, v28 :: v_dual_sub_f32 v29, v29, v31
	v_add_f32_e32 v29, v29, v30
	v_cvt_i32_f32_e32 v30, v31
	s_delay_alu instid0(VALU_DEP_2) | instskip(SKIP_2) | instid1(VALU_DEP_1)
	v_exp_f32_e32 v29, v29
	s_waitcnt_depctr 0xfff
	v_ldexp_f32 v29, v29, v30
	v_cndmask_b32_e32 v29, 0, v29, vcc_lo
	v_cmp_nlt_f32_e32 vcc_lo, 0x42b17218, v28
	s_delay_alu instid0(VALU_DEP_2) | instskip(SKIP_2) | instid1(VALU_DEP_3)
	v_cndmask_b32_e32 v28, 0x7f800000, v29, vcc_lo
	v_mul_f32_e32 v29, 0x3fb8aa3b, v27
	v_cmp_ngt_f32_e32 vcc_lo, 0xc2ce8ed0, v27
	v_add_f32_e32 v28, 1.0, v28
	s_delay_alu instid0(VALU_DEP_3) | instskip(SKIP_1) | instid1(VALU_DEP_2)
	v_fma_f32 v30, 0x3fb8aa3b, v27, -v29
	v_rndne_f32_e32 v31, v29
	v_fmac_f32_e32 v30, 0x32a5705f, v27
	s_delay_alu instid0(VALU_DEP_2) | instskip(NEXT) | instid1(VALU_DEP_1)
	v_sub_f32_e32 v29, v29, v31
	v_add_f32_e32 v29, v29, v30
	v_cvt_i32_f32_e32 v30, v31
	s_delay_alu instid0(VALU_DEP_2) | instskip(SKIP_2) | instid1(VALU_DEP_1)
	v_exp_f32_e32 v29, v29
	s_waitcnt_depctr 0xfff
	v_ldexp_f32 v29, v29, v30
	v_cndmask_b32_e32 v29, 0, v29, vcc_lo
	v_cmp_nlt_f32_e32 vcc_lo, 0x42b17218, v27
	s_delay_alu instid0(VALU_DEP_2) | instskip(SKIP_1) | instid1(VALU_DEP_2)
	v_cndmask_b32_e32 v27, 0x7f800000, v29, vcc_lo
	v_div_scale_f32 v29, null, v28, v28, v25
	v_add_f32_e32 v27, 1.0, v27
	s_delay_alu instid0(VALU_DEP_2) | instskip(SKIP_2) | instid1(VALU_DEP_1)
	v_rcp_f32_e32 v30, v29
	s_waitcnt_depctr 0xfff
	v_fma_f32 v31, -v29, v30, 1.0
	v_fmac_f32_e32 v30, v31, v30
	v_div_scale_f32 v31, vcc_lo, v25, v28, v25
	s_delay_alu instid0(VALU_DEP_1) | instskip(NEXT) | instid1(VALU_DEP_1)
	v_mul_f32_e32 v32, v31, v30
	v_fma_f32 v33, -v29, v32, v31
	s_delay_alu instid0(VALU_DEP_1) | instskip(NEXT) | instid1(VALU_DEP_1)
	v_fmac_f32_e32 v32, v33, v30
	v_fma_f32 v29, -v29, v32, v31
	s_delay_alu instid0(VALU_DEP_1) | instskip(NEXT) | instid1(VALU_DEP_1)
	v_div_fmas_f32 v29, v29, v30, v32
	v_div_fixup_f32 v28, v29, v28, v25
	v_div_scale_f32 v25, null, v27, v27, v26
	s_delay_alu instid0(VALU_DEP_1) | instskip(SKIP_2) | instid1(VALU_DEP_1)
	v_rcp_f32_e32 v29, v25
	s_waitcnt_depctr 0xfff
	v_fma_f32 v30, -v25, v29, 1.0
	v_fmac_f32_e32 v29, v30, v29
	v_div_scale_f32 v30, vcc_lo, v26, v27, v26
	s_delay_alu instid0(VALU_DEP_1) | instskip(NEXT) | instid1(VALU_DEP_1)
	v_mul_f32_e32 v31, v30, v29
	v_fma_f32 v32, -v25, v31, v30
	s_delay_alu instid0(VALU_DEP_1) | instskip(NEXT) | instid1(VALU_DEP_1)
	v_fmac_f32_e32 v31, v32, v29
	v_fma_f32 v25, -v25, v31, v30
	s_delay_alu instid0(VALU_DEP_1) | instskip(NEXT) | instid1(VALU_DEP_1)
	v_div_fmas_f32 v25, v25, v29, v31
	v_div_fixup_f32 v25, v25, v27, v26
	v_bfe_u32 v27, v28, 16, 1
	s_delay_alu instid0(VALU_DEP_2) | instskip(SKIP_1) | instid1(VALU_DEP_3)
	v_bfe_u32 v26, v25, 16, 1
	v_cmp_o_f32_e32 vcc_lo, v25, v25
	v_add3_u32 v27, v28, v27, 0x7fff
	s_delay_alu instid0(VALU_DEP_3) | instskip(NEXT) | instid1(VALU_DEP_2)
	v_add3_u32 v26, v25, v26, 0x7fff
	v_lshrrev_b32_e32 v27, 16, v27
	s_delay_alu instid0(VALU_DEP_2) | instskip(NEXT) | instid1(VALU_DEP_1)
	v_lshrrev_b32_e32 v26, 16, v26
	v_cndmask_b32_e32 v25, 0x7fc0, v26, vcc_lo
	v_cmp_o_f32_e32 vcc_lo, v28, v28
	v_mul_f32_e32 v28, 0xbfd9db23, v4
	v_cndmask_b32_e32 v26, 0x7fc0, v27, vcc_lo
	s_delay_alu instid0(VALU_DEP_2) | instskip(SKIP_2) | instid1(VALU_DEP_3)
	v_mul_f32_e32 v29, 0x3fb8aa3b, v28
	v_cmp_ngt_f32_e32 vcc_lo, 0xc2ce8ed0, v28
	v_mul_f32_e32 v27, 0xbfd9db23, v8
	v_fma_f32 v30, 0x3fb8aa3b, v28, -v29
	v_rndne_f32_e32 v31, v29
	s_delay_alu instid0(VALU_DEP_1) | instskip(NEXT) | instid1(VALU_DEP_1)
	v_dual_fmac_f32 v30, 0x32a5705f, v28 :: v_dual_sub_f32 v29, v29, v31
	v_add_f32_e32 v29, v29, v30
	v_cvt_i32_f32_e32 v30, v31
	s_delay_alu instid0(VALU_DEP_2) | instskip(SKIP_2) | instid1(VALU_DEP_1)
	v_exp_f32_e32 v29, v29
	s_waitcnt_depctr 0xfff
	v_ldexp_f32 v29, v29, v30
	v_cndmask_b32_e32 v29, 0, v29, vcc_lo
	v_cmp_nlt_f32_e32 vcc_lo, 0x42b17218, v28
	s_delay_alu instid0(VALU_DEP_2) | instskip(SKIP_2) | instid1(VALU_DEP_3)
	v_cndmask_b32_e32 v28, 0x7f800000, v29, vcc_lo
	v_mul_f32_e32 v29, 0x3fb8aa3b, v27
	v_cmp_ngt_f32_e32 vcc_lo, 0xc2ce8ed0, v27
	v_add_f32_e32 v28, 1.0, v28
	s_delay_alu instid0(VALU_DEP_3) | instskip(SKIP_1) | instid1(VALU_DEP_2)
	v_fma_f32 v30, 0x3fb8aa3b, v27, -v29
	v_rndne_f32_e32 v31, v29
	v_fmac_f32_e32 v30, 0x32a5705f, v27
	s_delay_alu instid0(VALU_DEP_2) | instskip(NEXT) | instid1(VALU_DEP_1)
	v_sub_f32_e32 v29, v29, v31
	v_add_f32_e32 v29, v29, v30
	v_cvt_i32_f32_e32 v30, v31
	s_delay_alu instid0(VALU_DEP_2) | instskip(SKIP_2) | instid1(VALU_DEP_1)
	v_exp_f32_e32 v29, v29
	s_waitcnt_depctr 0xfff
	v_ldexp_f32 v29, v29, v30
	v_cndmask_b32_e32 v29, 0, v29, vcc_lo
	v_cmp_nlt_f32_e32 vcc_lo, 0x42b17218, v27
	s_delay_alu instid0(VALU_DEP_2) | instskip(SKIP_1) | instid1(VALU_DEP_2)
	v_cndmask_b32_e32 v27, 0x7f800000, v29, vcc_lo
	v_div_scale_f32 v29, null, v28, v28, v4
	v_add_f32_e32 v27, 1.0, v27
	s_delay_alu instid0(VALU_DEP_2) | instskip(SKIP_2) | instid1(VALU_DEP_1)
	v_rcp_f32_e32 v30, v29
	s_waitcnt_depctr 0xfff
	v_fma_f32 v31, -v29, v30, 1.0
	v_fmac_f32_e32 v30, v31, v30
	v_div_scale_f32 v31, vcc_lo, v4, v28, v4
	s_delay_alu instid0(VALU_DEP_1) | instskip(NEXT) | instid1(VALU_DEP_1)
	v_mul_f32_e32 v32, v31, v30
	v_fma_f32 v33, -v29, v32, v31
	s_delay_alu instid0(VALU_DEP_1) | instskip(NEXT) | instid1(VALU_DEP_1)
	v_fmac_f32_e32 v32, v33, v30
	v_fma_f32 v29, -v29, v32, v31
	s_delay_alu instid0(VALU_DEP_1) | instskip(NEXT) | instid1(VALU_DEP_1)
	v_div_fmas_f32 v29, v29, v30, v32
	v_div_fixup_f32 v28, v29, v28, v4
	v_div_scale_f32 v4, null, v27, v27, v8
	s_delay_alu instid0(VALU_DEP_1) | instskip(SKIP_2) | instid1(VALU_DEP_1)
	v_rcp_f32_e32 v29, v4
	s_waitcnt_depctr 0xfff
	v_fma_f32 v30, -v4, v29, 1.0
	v_fmac_f32_e32 v29, v30, v29
	v_div_scale_f32 v30, vcc_lo, v8, v27, v8
	s_delay_alu instid0(VALU_DEP_1) | instskip(NEXT) | instid1(VALU_DEP_1)
	v_mul_f32_e32 v31, v30, v29
	v_fma_f32 v32, -v4, v31, v30
	s_delay_alu instid0(VALU_DEP_1) | instskip(NEXT) | instid1(VALU_DEP_1)
	v_fmac_f32_e32 v31, v32, v29
	v_fma_f32 v4, -v4, v31, v30
	s_delay_alu instid0(VALU_DEP_1) | instskip(NEXT) | instid1(VALU_DEP_1)
	v_div_fmas_f32 v4, v4, v29, v31
	v_div_fixup_f32 v4, v4, v27, v8
	v_bfe_u32 v27, v28, 16, 1
	s_delay_alu instid0(VALU_DEP_2) | instskip(NEXT) | instid1(VALU_DEP_2)
	v_bfe_u32 v8, v4, 16, 1
	v_add3_u32 v27, v28, v27, 0x7fff
	v_cmp_o_f32_e32 vcc_lo, v4, v4
	s_delay_alu instid0(VALU_DEP_3) | instskip(NEXT) | instid1(VALU_DEP_3)
	v_add3_u32 v8, v4, v8, 0x7fff
	v_lshrrev_b32_e32 v27, 16, v27
	s_delay_alu instid0(VALU_DEP_2) | instskip(NEXT) | instid1(VALU_DEP_1)
	v_lshrrev_b32_e32 v8, 16, v8
	v_cndmask_b32_e32 v4, 0x7fc0, v8, vcc_lo
	v_cmp_o_f32_e32 vcc_lo, v28, v28
	s_delay_alu instid0(VALU_DEP_2)
	v_perm_b32 v4, v4, v25, 0x5040100
	v_cndmask_b32_e32 v8, 0x7fc0, v27, vcc_lo
	v_add_co_u32 v12, vcc_lo, s5, v12
	v_add_co_ci_u32_e32 v13, vcc_lo, s7, v13, vcc_lo
	v_add_co_u32 v14, vcc_lo, s5, v14
	v_add_co_ci_u32_e32 v15, vcc_lo, s7, v15, vcc_lo
	v_cmp_eq_u32_e32 vcc_lo, 0, v18
	v_perm_b32 v8, v8, v26, 0x5040100
	s_or_b32 s6, vcc_lo, s6
	s_clause 0x1
	global_store_b128 v[12:13], v[5:8], off
	global_store_b128 v[14:15], v[1:4], off
	s_and_not1_b32 exec_lo, exec_lo, s6
	s_cbranch_execnz .LBB82_3
; %bb.4:
	s_or_b32 exec_lo, exec_lo, s6
	v_cmp_ne_u32_e32 vcc_lo, v16, v17
	v_add_nc_u32_e32 v0, v0, v17
	s_or_not1_b32 s3, vcc_lo, exec_lo
.LBB82_5:
	s_or_b32 exec_lo, exec_lo, s2
	s_delay_alu instid0(SALU_CYCLE_1)
	s_and_b32 exec_lo, exec_lo, s3
	s_cbranch_execz .LBB82_8
; %bb.6:
	v_mov_b32_e32 v1, 0
	s_lshl_b64 s[0:1], s[0:1], 1
	s_mov_b32 s11, 0
	s_lshl_b32 s12, s10, 4
	s_delay_alu instid0(VALU_DEP_1) | instskip(NEXT) | instid1(VALU_DEP_1)
	v_lshlrev_b64 v[1:2], 4, v[0:1]
	v_add_co_u32 v1, vcc_lo, v1, s0
	s_delay_alu instid0(VALU_DEP_2)
	v_add_co_ci_u32_e32 v2, vcc_lo, s1, v2, vcc_lo
.LBB82_7:                               ; =>This Inner Loop Header: Depth=1
	s_delay_alu instid0(VALU_DEP_2) | instskip(NEXT) | instid1(VALU_DEP_2)
	v_add_co_u32 v3, vcc_lo, s18, v1
	v_add_co_ci_u32_e32 v4, vcc_lo, s19, v2, vcc_lo
	v_add_co_u32 v7, vcc_lo, s16, v1
	v_add_co_ci_u32_e32 v8, vcc_lo, s17, v2, vcc_lo
	global_load_b128 v[3:6], v[3:4], off
	v_add_co_u32 v1, s0, v1, s12
	s_waitcnt vmcnt(0)
	v_lshlrev_b32_e32 v12, 16, v6
	v_lshlrev_b32_e32 v11, 16, v5
	v_and_b32_e32 v5, 0xffff0000, v5
	s_delay_alu instid0(VALU_DEP_1) | instskip(NEXT) | instid1(VALU_DEP_1)
	v_dual_mul_f32 v17, 0xbfd9db23, v5 :: v_dual_lshlrev_b32 v10, 16, v4
	v_dual_mul_f32 v16, 0xbfd9db23, v10 :: v_dual_lshlrev_b32 v9, 16, v3
	v_and_b32_e32 v3, 0xffff0000, v3
	v_add_nc_u32_e32 v0, s10, v0
	s_delay_alu instid0(VALU_DEP_4) | instskip(NEXT) | instid1(VALU_DEP_4)
	v_cmp_ngt_f32_e64 s5, 0xc2ce8ed0, v17
	v_mul_f32_e32 v14, 0xbfd9db23, v9
	v_cmp_ngt_f32_e64 s2, 0xc2ce8ed0, v16
	v_mul_f32_e32 v13, 0xbfd9db23, v3
	v_cmp_le_i32_e64 s1, s9, v0
	s_delay_alu instid0(VALU_DEP_4) | instskip(NEXT) | instid1(VALU_DEP_3)
	v_dual_mul_f32 v26, 0x3fb8aa3b, v17 :: v_dual_mul_f32 v21, 0x3fb8aa3b, v14
	v_mul_f32_e32 v22, 0x3fb8aa3b, v13
	v_cmp_ngt_f32_e32 vcc_lo, 0xc2ce8ed0, v13
	s_delay_alu instid0(VALU_DEP_4) | instskip(NEXT) | instid1(VALU_DEP_3)
	s_or_b32 s11, s1, s11
	v_rndne_f32_e32 v30, v21
	v_and_b32_e32 v4, 0xffff0000, v4
	v_fma_f32 v29, 0x3fb8aa3b, v14, -v21
	v_fma_f32 v31, 0x3fb8aa3b, v13, -v22
	v_rndne_f32_e32 v32, v22
	v_sub_f32_e32 v21, v21, v30
	v_mul_f32_e32 v15, 0xbfd9db23, v4
	v_mul_f32_e32 v23, 0x3fb8aa3b, v16
	;; [unrolled: 1-line block ×3, first 2 shown]
	v_sub_f32_e32 v22, v22, v32
	v_cvt_i32_f32_e32 v32, v32
	v_mul_f32_e32 v24, 0x3fb8aa3b, v15
	v_rndne_f32_e32 v34, v23
	v_mul_f32_e32 v18, 0xbfd9db23, v11
	v_fma_f32 v33, 0x3fb8aa3b, v16, -v23
	v_cvt_i32_f32_e32 v30, v30
	v_rndne_f32_e32 v40, v26
	v_sub_f32_e32 v23, v23, v34
	v_mul_f32_e32 v25, 0x3fb8aa3b, v18
	v_fma_f32 v39, 0x3fb8aa3b, v17, -v26
	s_delay_alu instid0(VALU_DEP_4) | instskip(SKIP_3) | instid1(VALU_DEP_4)
	v_dual_fmac_f32 v29, 0x32a5705f, v14 :: v_dual_sub_f32 v26, v26, v40
	v_and_b32_e32 v6, 0xffff0000, v6
	v_fma_f32 v35, 0x3fb8aa3b, v15, -v24
	v_rndne_f32_e32 v36, v24
	v_add_f32_e32 v21, v21, v29
	v_fma_f32 v37, 0x3fb8aa3b, v18, -v25
	v_mul_f32_e32 v19, 0xbfd9db23, v6
	v_mul_f32_e32 v27, 0x3fb8aa3b, v20
	v_sub_f32_e32 v24, v24, v36
	v_exp_f32_e32 v21, v21
	v_cvt_i32_f32_e32 v34, v34
	v_mul_f32_e32 v28, 0x3fb8aa3b, v19
	v_cvt_i32_f32_e32 v36, v36
	v_cmp_ngt_f32_e64 s3, 0xc2ce8ed0, v15
	v_cmp_ngt_f32_e64 s8, 0xc2ce8ed0, v14
	v_rndne_f32_e32 v38, v25
	v_rndne_f32_e32 v44, v28
	v_fmac_f32_e32 v31, 0x32a5705f, v13
	v_fma_f32 v43, 0x3fb8aa3b, v19, -v28
	v_ldexp_f32 v21, v21, v30
	v_fma_f32 v41, 0x3fb8aa3b, v20, -v27
	v_sub_f32_e32 v28, v28, v44
	v_dual_fmac_f32 v33, 0x32a5705f, v16 :: v_dual_add_f32 v22, v22, v31
	v_rndne_f32_e32 v42, v27
	v_fmac_f32_e32 v43, 0x32a5705f, v19
	v_cndmask_b32_e64 v21, 0, v21, s8
	s_delay_alu instid0(VALU_DEP_4) | instskip(SKIP_3) | instid1(VALU_DEP_3)
	v_add_f32_e32 v23, v23, v33
	v_exp_f32_e32 v22, v22
	v_cmp_nlt_f32_e64 s8, 0x42b17218, v14
	v_dual_fmac_f32 v39, 0x32a5705f, v17 :: v_dual_add_f32 v28, v28, v43
	v_exp_f32_e32 v23, v23
	v_sub_f32_e32 v25, v25, v38
	s_delay_alu instid0(VALU_DEP_3) | instskip(NEXT) | instid1(VALU_DEP_3)
	v_cndmask_b32_e64 v14, 0x7f800000, v21, s8
	v_dual_add_f32 v26, v26, v39 :: v_dual_fmac_f32 v41, 0x32a5705f, v20
	v_exp_f32_e32 v28, v28
	s_delay_alu instid0(TRANS32_DEP_3) | instskip(NEXT) | instid1(VALU_DEP_3)
	v_ldexp_f32 v22, v22, v32
	v_dual_add_f32 v14, 1.0, v14 :: v_dual_fmac_f32 v35, 0x32a5705f, v15
	s_delay_alu instid0(VALU_DEP_3) | instskip(NEXT) | instid1(TRANS32_DEP_3)
	v_exp_f32_e32 v26, v26
	v_ldexp_f32 v23, v23, v34
	s_delay_alu instid0(VALU_DEP_3) | instskip(NEXT) | instid1(VALU_DEP_3)
	v_cndmask_b32_e32 v22, 0, v22, vcc_lo
	v_dual_fmac_f32 v37, 0x32a5705f, v18 :: v_dual_add_f32 v24, v24, v35
	v_cmp_nlt_f32_e32 vcc_lo, 0x42b17218, v13
	s_delay_alu instid0(VALU_DEP_4) | instskip(SKIP_1) | instid1(VALU_DEP_4)
	v_cndmask_b32_e64 v13, 0, v23, s2
	v_cmp_nlt_f32_e64 s2, 0x42b17218, v16
	v_add_f32_e32 v25, v25, v37
	v_exp_f32_e32 v24, v24
	v_cvt_i32_f32_e32 v38, v38
	v_cvt_i32_f32_e32 v40, v40
	;; [unrolled: 1-line block ×3, first 2 shown]
	v_exp_f32_e32 v25, v25
	v_cmp_ngt_f32_e64 s4, 0xc2ce8ed0, v18
	v_cmp_ngt_f32_e64 s6, 0xc2ce8ed0, v20
	v_ldexp_f32 v26, v26, v40
	v_ldexp_f32 v28, v28, v44
	v_cmp_ngt_f32_e64 s7, 0xc2ce8ed0, v19
	v_ldexp_f32 v24, v24, v36
	v_cndmask_b32_e64 v13, 0x7f800000, v13, s2
	v_div_scale_f32 v21, null, v14, v14, v9
	s_delay_alu instid0(TRANS32_DEP_1) | instskip(NEXT) | instid1(VALU_DEP_4)
	v_ldexp_f32 v25, v25, v38
	v_cndmask_b32_e64 v16, 0, v24, s3
	v_cmp_nlt_f32_e64 s3, 0x42b17218, v15
	s_delay_alu instid0(VALU_DEP_4) | instskip(NEXT) | instid1(VALU_DEP_3)
	v_rcp_f32_e32 v37, v21
	v_cndmask_b32_e64 v15, 0, v25, s4
	v_cmp_nlt_f32_e64 s4, 0x42b17218, v18
	s_delay_alu instid0(VALU_DEP_3) | instskip(SKIP_4) | instid1(VALU_DEP_4)
	v_cndmask_b32_e64 v16, 0x7f800000, v16, s3
	v_sub_f32_e32 v27, v27, v42
	v_cvt_i32_f32_e32 v42, v42
	v_cndmask_b32_e64 v18, 0, v26, s5
	v_cmp_nlt_f32_e64 s5, 0x42b17218, v17
	v_dual_add_f32 v16, 1.0, v16 :: v_dual_add_f32 v27, v27, v41
	v_cndmask_b32_e64 v15, 0x7f800000, v15, s4
	v_fma_f32 v45, -v21, v37, 1.0
	s_delay_alu instid0(VALU_DEP_4) | instskip(NEXT) | instid1(VALU_DEP_4)
	v_cndmask_b32_e64 v18, 0x7f800000, v18, s5
	v_exp_f32_e32 v27, v27
	s_delay_alu instid0(VALU_DEP_1) | instskip(NEXT) | instid1(VALU_DEP_1)
	v_add_f32_e32 v18, 1.0, v18
	v_div_scale_f32 v31, null, v18, v18, v5
	s_waitcnt_depctr 0xfff
	v_ldexp_f32 v27, v27, v42
	v_rcp_f32_e32 v42, v31
	s_delay_alu instid0(VALU_DEP_1) | instskip(SKIP_4) | instid1(VALU_DEP_4)
	v_cndmask_b32_e64 v17, 0, v27, s6
	v_cmp_nlt_f32_e64 s6, 0x42b17218, v20
	v_cndmask_b32_e64 v20, 0, v28, s7
	v_cmp_nlt_f32_e64 s7, 0x42b17218, v19
	v_div_scale_f32 v27, null, v16, v16, v4
	v_cndmask_b32_e64 v17, 0x7f800000, v17, s6
	v_div_scale_f32 v28, s4, v4, v16, v4
	s_delay_alu instid0(VALU_DEP_4) | instskip(NEXT) | instid1(TRANS32_DEP_1)
	v_cndmask_b32_e64 v20, 0x7f800000, v20, s7
	v_fma_f32 v50, -v31, v42, 1.0
	v_rcp_f32_e32 v40, v27
	v_div_scale_f32 v32, s6, v5, v18, v5
	s_delay_alu instid0(VALU_DEP_3) | instskip(NEXT) | instid1(VALU_DEP_3)
	v_add_f32_e32 v20, 1.0, v20
	v_dual_fmac_f32 v42, v50, v42 :: v_dual_add_f32 v17, 1.0, v17
	s_delay_alu instid0(VALU_DEP_2) | instskip(NEXT) | instid1(VALU_DEP_2)
	v_div_scale_f32 v35, null, v20, v20, v6
	v_mul_f32_e32 v50, v32, v42
	s_waitcnt_depctr 0xfff
	v_fma_f32 v48, -v27, v40, 1.0
	v_div_scale_f32 v33, null, v17, v17, v12
	v_rcp_f32_e32 v44, v35
	v_div_scale_f32 v36, s8, v6, v20, v6
	s_delay_alu instid0(VALU_DEP_3) | instskip(SKIP_2) | instid1(VALU_DEP_2)
	v_dual_fmac_f32 v40, v48, v40 :: v_dual_add_f32 v15, 1.0, v15
	v_div_scale_f32 v34, s7, v12, v17, v12
	v_rcp_f32_e32 v43, v33
	v_mul_f32_e32 v48, v28, v40
	s_delay_alu instid0(VALU_DEP_3) | instskip(NEXT) | instid1(TRANS32_DEP_2)
	v_div_scale_f32 v29, null, v15, v15, v11
	v_fma_f32 v52, -v35, v44, 1.0
	v_cndmask_b32_e32 v19, 0x7f800000, v22, vcc_lo
	v_div_scale_f32 v22, vcc_lo, v9, v14, v9
	s_delay_alu instid0(VALU_DEP_4) | instskip(NEXT) | instid1(VALU_DEP_2)
	v_rcp_f32_e32 v41, v29
	v_dual_fmac_f32 v44, v52, v44 :: v_dual_add_f32 v19, 1.0, v19
	v_fmac_f32_e32 v37, v45, v37
	v_div_scale_f32 v30, s5, v11, v15, v11
	s_delay_alu instid0(VALU_DEP_3) | instskip(NEXT) | instid1(VALU_DEP_4)
	v_mul_f32_e32 v52, v36, v44
	v_div_scale_f32 v23, null, v19, v19, v3
	v_div_scale_f32 v24, s2, v3, v19, v3
	s_delay_alu instid0(TRANS32_DEP_1) | instskip(NEXT) | instid1(VALU_DEP_3)
	v_fma_f32 v49, -v29, v41, 1.0
	v_rcp_f32_e32 v38, v23
	v_fma_f32 v60, -v35, v52, v36
	v_mul_f32_e32 v45, v22, v37
	v_fma_f32 v51, -v33, v43, 1.0
	v_fma_f32 v56, -v27, v48, v28
	s_delay_alu instid0(VALU_DEP_4) | instskip(NEXT) | instid1(VALU_DEP_4)
	v_dual_fmac_f32 v41, v49, v41 :: v_dual_fmac_f32 v52, v60, v44
	v_fma_f32 v53, -v21, v45, v22
	v_fma_f32 v58, -v31, v50, v32
	s_delay_alu instid0(VALU_DEP_4) | instskip(NEXT) | instid1(TRANS32_DEP_1)
	v_fmac_f32_e32 v48, v56, v40
	v_fma_f32 v46, -v23, v38, 1.0
	v_fmac_f32_e32 v43, v51, v43
	v_mul_f32_e32 v49, v30, v41
	v_dual_fmac_f32 v45, v53, v37 :: v_dual_fmac_f32 v50, v58, v42
	s_delay_alu instid0(VALU_DEP_4) | instskip(NEXT) | instid1(VALU_DEP_4)
	v_dual_fmac_f32 v38, v46, v38 :: v_dual_add_f32 v13, 1.0, v13
	v_mul_f32_e32 v51, v34, v43
	s_delay_alu instid0(VALU_DEP_4) | instskip(NEXT) | instid1(VALU_DEP_4)
	v_fma_f32 v57, -v29, v49, v30
	v_fma_f32 v21, -v21, v45, v22
	s_delay_alu instid0(VALU_DEP_4) | instskip(SKIP_2) | instid1(VALU_DEP_3)
	v_mul_f32_e32 v46, v24, v38
	v_div_scale_f32 v25, null, v13, v13, v10
	v_div_scale_f32 v26, s3, v10, v13, v10
	v_fma_f32 v54, -v23, v46, v24
	s_delay_alu instid0(VALU_DEP_3)
	v_rcp_f32_e32 v39, v25
	v_fma_f32 v59, -v33, v51, v34
	v_fmac_f32_e32 v49, v57, v41
	v_div_fmas_f32 v21, v21, v37, v45
	v_fmac_f32_e32 v46, v54, v38
	s_mov_b32 vcc_lo, s2
	v_fmac_f32_e32 v51, v59, v43
	s_delay_alu instid0(VALU_DEP_3) | instskip(NEXT) | instid1(VALU_DEP_3)
	v_div_fixup_f32 v9, v21, v14, v9
	v_fma_f32 v22, -v23, v46, v24
	s_delay_alu instid0(TRANS32_DEP_1)
	v_fma_f32 v47, -v25, v39, 1.0
	v_fma_f32 v24, -v27, v48, v28
	v_fma_f32 v27, -v33, v51, v34
	;; [unrolled: 1-line block ×3, first 2 shown]
	v_div_fmas_f32 v22, v22, v38, v46
	v_fmac_f32_e32 v39, v47, v39
	s_mov_b32 vcc_lo, s3
	s_delay_alu instid0(VALU_DEP_2) | instskip(NEXT) | instid1(VALU_DEP_2)
	v_div_fixup_f32 v3, v22, v19, v3
	v_mul_f32_e32 v47, v26, v39
	s_delay_alu instid0(VALU_DEP_2) | instskip(NEXT) | instid1(VALU_DEP_2)
	v_cmp_o_f32_e64 s2, v3, v3
	v_fma_f32 v55, -v25, v47, v26
	s_delay_alu instid0(VALU_DEP_1) | instskip(NEXT) | instid1(VALU_DEP_1)
	v_fmac_f32_e32 v47, v55, v39
	v_fma_f32 v23, -v25, v47, v26
	v_fma_f32 v25, -v29, v49, v30
	;; [unrolled: 1-line block ×3, first 2 shown]
	s_delay_alu instid0(VALU_DEP_3) | instskip(SKIP_3) | instid1(VALU_DEP_2)
	v_div_fmas_f32 v23, v23, v39, v47
	s_mov_b32 vcc_lo, s4
	v_div_fmas_f32 v14, v24, v40, v48
	s_mov_b32 vcc_lo, s5
	v_div_fixup_f32 v10, v23, v13, v10
	v_div_fmas_f32 v19, v25, v41, v49
	s_mov_b32 vcc_lo, s6
	v_div_fixup_f32 v4, v14, v16, v4
	v_div_fmas_f32 v21, v26, v42, v50
	s_mov_b32 vcc_lo, s7
	v_bfe_u32 v13, v9, 16, 1
	v_div_fmas_f32 v16, v27, v43, v51
	s_mov_b32 vcc_lo, s8
	v_bfe_u32 v14, v3, 16, 1
	v_div_fixup_f32 v11, v19, v15, v11
	v_div_fmas_f32 v19, v28, v44, v52
	v_bfe_u32 v15, v10, 16, 1
	v_add3_u32 v13, v9, v13, 0x7fff
	v_div_fixup_f32 v5, v21, v18, v5
	v_bfe_u32 v18, v4, 16, 1
	v_add3_u32 v14, v3, v14, 0x7fff
	v_div_fixup_f32 v12, v16, v17, v12
	v_bfe_u32 v16, v11, 16, 1
	v_div_fixup_f32 v6, v19, v20, v6
	v_add3_u32 v15, v10, v15, 0x7fff
	v_lshrrev_b32_e32 v13, 16, v13
	v_bfe_u32 v17, v5, 16, 1
	v_cmp_o_f32_e32 vcc_lo, v9, v9
	v_add3_u32 v9, v4, v18, 0x7fff
	v_lshrrev_b32_e32 v14, 16, v14
	v_bfe_u32 v3, v12, 16, 1
	v_add3_u32 v16, v11, v16, 0x7fff
	v_cmp_o_f32_e64 s3, v10, v10
	v_bfe_u32 v10, v6, 16, 1
	v_lshrrev_b32_e32 v15, 16, v15
	v_cndmask_b32_e32 v13, 0x7fc0, v13, vcc_lo
	v_add3_u32 v17, v5, v17, 0x7fff
	v_lshrrev_b32_e32 v9, 16, v9
	v_cmp_o_f32_e32 vcc_lo, v4, v4
	v_cndmask_b32_e64 v4, 0x7fc0, v14, s2
	v_add3_u32 v3, v12, v3, 0x7fff
	v_lshrrev_b32_e32 v14, 16, v16
	v_cmp_o_f32_e64 s2, v11, v11
	v_add3_u32 v10, v6, v10, 0x7fff
	v_cndmask_b32_e64 v11, 0x7fc0, v15, s3
	v_lshrrev_b32_e32 v15, 16, v17
	v_cmp_o_f32_e64 s3, v5, v5
	v_cndmask_b32_e32 v5, 0x7fc0, v9, vcc_lo
	v_lshrrev_b32_e32 v3, 16, v3
	v_cmp_o_f32_e32 vcc_lo, v12, v12
	v_cndmask_b32_e64 v9, 0x7fc0, v14, s2
	v_lshrrev_b32_e32 v10, 16, v10
	v_cmp_o_f32_e64 s2, v6, v6
	v_cndmask_b32_e64 v6, 0x7fc0, v15, s3
	v_cndmask_b32_e32 v12, 0x7fc0, v3, vcc_lo
	v_perm_b32 v3, v4, v13, 0x5040100
	v_perm_b32 v4, v5, v11, 0x5040100
	v_cndmask_b32_e64 v10, 0x7fc0, v10, s2
	v_perm_b32 v5, v6, v9, 0x5040100
	v_add_co_ci_u32_e64 v2, vcc_lo, 0, v2, s0
	s_delay_alu instid0(VALU_DEP_3)
	v_perm_b32 v6, v10, v12, 0x5040100
	global_store_b128 v[7:8], v[3:6], off
	s_and_not1_b32 exec_lo, exec_lo, s11
	s_cbranch_execnz .LBB82_7
.LBB82_8:
	s_nop 0
	s_sendmsg sendmsg(MSG_DEALLOC_VGPRS)
	s_endpgm
	.section	.rodata,"a",@progbits
	.p2align	6, 0x0
	.amdhsa_kernel _ZN4vllm17activation_kernelIN3c108BFloat16ETnPFT_RKS3_EXadL_ZNS_17gelu_quick_kernelIS2_EES3_S5_EELb1ELb0EEEvPS3_PS4_i
		.amdhsa_group_segment_fixed_size 0
		.amdhsa_private_segment_fixed_size 0
		.amdhsa_kernarg_size 280
		.amdhsa_user_sgpr_count 15
		.amdhsa_user_sgpr_dispatch_ptr 0
		.amdhsa_user_sgpr_queue_ptr 0
		.amdhsa_user_sgpr_kernarg_segment_ptr 1
		.amdhsa_user_sgpr_dispatch_id 0
		.amdhsa_user_sgpr_private_segment_size 0
		.amdhsa_wavefront_size32 1
		.amdhsa_uses_dynamic_stack 0
		.amdhsa_enable_private_segment 0
		.amdhsa_system_sgpr_workgroup_id_x 1
		.amdhsa_system_sgpr_workgroup_id_y 0
		.amdhsa_system_sgpr_workgroup_id_z 0
		.amdhsa_system_sgpr_workgroup_info 0
		.amdhsa_system_vgpr_workitem_id 0
		.amdhsa_next_free_vgpr 61
		.amdhsa_next_free_sgpr 20
		.amdhsa_reserve_vcc 1
		.amdhsa_float_round_mode_32 0
		.amdhsa_float_round_mode_16_64 0
		.amdhsa_float_denorm_mode_32 3
		.amdhsa_float_denorm_mode_16_64 3
		.amdhsa_dx10_clamp 1
		.amdhsa_ieee_mode 1
		.amdhsa_fp16_overflow 0
		.amdhsa_workgroup_processor_mode 1
		.amdhsa_memory_ordered 1
		.amdhsa_forward_progress 0
		.amdhsa_shared_vgpr_count 0
		.amdhsa_exception_fp_ieee_invalid_op 0
		.amdhsa_exception_fp_denorm_src 0
		.amdhsa_exception_fp_ieee_div_zero 0
		.amdhsa_exception_fp_ieee_overflow 0
		.amdhsa_exception_fp_ieee_underflow 0
		.amdhsa_exception_fp_ieee_inexact 0
		.amdhsa_exception_int_div_zero 0
	.end_amdhsa_kernel
	.section	.text._ZN4vllm17activation_kernelIN3c108BFloat16ETnPFT_RKS3_EXadL_ZNS_17gelu_quick_kernelIS2_EES3_S5_EELb1ELb0EEEvPS3_PS4_i,"axG",@progbits,_ZN4vllm17activation_kernelIN3c108BFloat16ETnPFT_RKS3_EXadL_ZNS_17gelu_quick_kernelIS2_EES3_S5_EELb1ELb0EEEvPS3_PS4_i,comdat
.Lfunc_end82:
	.size	_ZN4vllm17activation_kernelIN3c108BFloat16ETnPFT_RKS3_EXadL_ZNS_17gelu_quick_kernelIS2_EES3_S5_EELb1ELb0EEEvPS3_PS4_i, .Lfunc_end82-_ZN4vllm17activation_kernelIN3c108BFloat16ETnPFT_RKS3_EXadL_ZNS_17gelu_quick_kernelIS2_EES3_S5_EELb1ELb0EEEvPS3_PS4_i
                                        ; -- End function
	.section	.AMDGPU.csdata,"",@progbits
; Kernel info:
; codeLenInByte = 6972
; NumSgprs: 22
; NumVgprs: 61
; ScratchSize: 0
; MemoryBound: 0
; FloatMode: 240
; IeeeMode: 1
; LDSByteSize: 0 bytes/workgroup (compile time only)
; SGPRBlocks: 2
; VGPRBlocks: 7
; NumSGPRsForWavesPerEU: 22
; NumVGPRsForWavesPerEU: 61
; Occupancy: 16
; WaveLimiterHint : 0
; COMPUTE_PGM_RSRC2:SCRATCH_EN: 0
; COMPUTE_PGM_RSRC2:USER_SGPR: 15
; COMPUTE_PGM_RSRC2:TRAP_HANDLER: 0
; COMPUTE_PGM_RSRC2:TGID_X_EN: 1
; COMPUTE_PGM_RSRC2:TGID_Y_EN: 0
; COMPUTE_PGM_RSRC2:TGID_Z_EN: 0
; COMPUTE_PGM_RSRC2:TIDIG_COMP_CNT: 0
	.section	.text._ZN4vllm17activation_kernelIfTnPFT_RKS1_EXadL_ZNS_17gelu_quick_kernelIfEES1_S3_EELb0ELb0EEEvPS1_PS2_i,"axG",@progbits,_ZN4vllm17activation_kernelIfTnPFT_RKS1_EXadL_ZNS_17gelu_quick_kernelIfEES1_S3_EELb0ELb0EEEvPS1_PS2_i,comdat
	.protected	_ZN4vllm17activation_kernelIfTnPFT_RKS1_EXadL_ZNS_17gelu_quick_kernelIfEES1_S3_EELb0ELb0EEEvPS1_PS2_i ; -- Begin function _ZN4vllm17activation_kernelIfTnPFT_RKS1_EXadL_ZNS_17gelu_quick_kernelIfEES1_S3_EELb0ELb0EEEvPS1_PS2_i
	.globl	_ZN4vllm17activation_kernelIfTnPFT_RKS1_EXadL_ZNS_17gelu_quick_kernelIfEES1_S3_EELb0ELb0EEEvPS1_PS2_i
	.p2align	8
	.type	_ZN4vllm17activation_kernelIfTnPFT_RKS1_EXadL_ZNS_17gelu_quick_kernelIfEES1_S3_EELb0ELb0EEEvPS1_PS2_i,@function
_ZN4vllm17activation_kernelIfTnPFT_RKS1_EXadL_ZNS_17gelu_quick_kernelIfEES1_S3_EELb0ELb0EEEvPS1_PS2_i: ; @_ZN4vllm17activation_kernelIfTnPFT_RKS1_EXadL_ZNS_17gelu_quick_kernelIfEES1_S3_EELb0ELb0EEEvPS1_PS2_i
; %bb.0:
	s_load_b32 s2, s[0:1], 0x10
	s_mov_b32 s3, exec_lo
	s_waitcnt lgkmcnt(0)
	v_cmpx_gt_i32_e64 s2, v0
	s_cbranch_execz .LBB83_3
; %bb.1:
	s_clause 0x1
	s_load_b32 s3, s[0:1], 0x24
	s_load_b128 s[4:7], s[0:1], 0x0
	v_dual_mov_b32 v1, 0 :: v_dual_lshlrev_b32 v2, 2, v0
	s_mul_i32 s0, s15, s2
	s_mov_b32 s1, 0
	s_delay_alu instid0(SALU_CYCLE_1)
	s_lshl_b64 s[8:9], s[0:1], 2
	s_delay_alu instid0(VALU_DEP_1) | instid1(SALU_CYCLE_1)
	v_add_co_u32 v2, s0, v2, s8
	s_delay_alu instid0(VALU_DEP_1)
	v_add_co_ci_u32_e64 v3, null, 0, s9, s0
	s_waitcnt lgkmcnt(0)
	s_and_b32 s8, s3, 0xffff
	s_ashr_i32 s3, s2, 31
	s_lshl_b32 s9, s8, 2
.LBB83_2:                               ; =>This Inner Loop Header: Depth=1
	v_add_co_u32 v4, vcc_lo, s6, v2
	v_add_co_ci_u32_e32 v5, vcc_lo, s7, v3, vcc_lo
	global_load_b32 v6, v[4:5], off
	s_waitcnt vmcnt(0)
	v_mul_f32_e32 v4, 0xbfd9db23, v6
	s_delay_alu instid0(VALU_DEP_1) | instskip(NEXT) | instid1(VALU_DEP_1)
	v_mul_f32_e32 v5, 0x3fb8aa3b, v4
	v_fma_f32 v7, 0x3fb8aa3b, v4, -v5
	v_rndne_f32_e32 v8, v5
	s_delay_alu instid0(VALU_DEP_1) | instskip(NEXT) | instid1(VALU_DEP_3)
	v_sub_f32_e32 v5, v5, v8
	v_fmac_f32_e32 v7, 0x32a5705f, v4
	v_cmp_ngt_f32_e32 vcc_lo, 0xc2ce8ed0, v4
	s_delay_alu instid0(VALU_DEP_2) | instskip(SKIP_1) | instid1(VALU_DEP_2)
	v_add_f32_e32 v5, v5, v7
	v_cvt_i32_f32_e32 v7, v8
	v_exp_f32_e32 v5, v5
	s_waitcnt_depctr 0xfff
	v_ldexp_f32 v5, v5, v7
	s_delay_alu instid0(VALU_DEP_1) | instskip(SKIP_1) | instid1(VALU_DEP_2)
	v_cndmask_b32_e32 v5, 0, v5, vcc_lo
	v_cmp_nlt_f32_e32 vcc_lo, 0x42b17218, v4
	v_cndmask_b32_e32 v4, 0x7f800000, v5, vcc_lo
	s_delay_alu instid0(VALU_DEP_1) | instskip(NEXT) | instid1(VALU_DEP_1)
	v_add_f32_e32 v7, 1.0, v4
	v_div_scale_f32 v8, null, v7, v7, v6
	v_div_scale_f32 v10, vcc_lo, v6, v7, v6
	s_delay_alu instid0(VALU_DEP_2) | instskip(SKIP_2) | instid1(VALU_DEP_1)
	v_rcp_f32_e32 v9, v8
	s_waitcnt_depctr 0xfff
	v_fma_f32 v4, -v8, v9, 1.0
	v_fmac_f32_e32 v9, v4, v9
	v_add_co_u32 v4, s0, s4, v2
	s_delay_alu instid0(VALU_DEP_2) | instskip(NEXT) | instid1(VALU_DEP_1)
	v_mul_f32_e32 v11, v10, v9
	v_fma_f32 v5, -v8, v11, v10
	s_delay_alu instid0(VALU_DEP_1) | instskip(SKIP_2) | instid1(VALU_DEP_3)
	v_fmac_f32_e32 v11, v5, v9
	v_add_co_ci_u32_e64 v5, s0, s5, v3, s0
	v_add_co_u32 v0, s0, v0, s8
	v_fma_f32 v8, -v8, v11, v10
	v_add_co_ci_u32_e64 v1, s0, 0, v1, s0
	v_add_co_u32 v2, s0, v2, s9
	s_delay_alu instid0(VALU_DEP_3) | instskip(NEXT) | instid1(VALU_DEP_3)
	v_div_fmas_f32 v8, v8, v9, v11
	v_cmp_le_i64_e32 vcc_lo, s[2:3], v[0:1]
	v_add_co_ci_u32_e64 v3, s0, 0, v3, s0
	s_delay_alu instid0(VALU_DEP_3)
	v_div_fixup_f32 v6, v8, v7, v6
	s_or_b32 s1, vcc_lo, s1
	global_store_b32 v[4:5], v6, off
	s_and_not1_b32 exec_lo, exec_lo, s1
	s_cbranch_execnz .LBB83_2
.LBB83_3:
	s_nop 0
	s_sendmsg sendmsg(MSG_DEALLOC_VGPRS)
	s_endpgm
	.section	.rodata,"a",@progbits
	.p2align	6, 0x0
	.amdhsa_kernel _ZN4vllm17activation_kernelIfTnPFT_RKS1_EXadL_ZNS_17gelu_quick_kernelIfEES1_S3_EELb0ELb0EEEvPS1_PS2_i
		.amdhsa_group_segment_fixed_size 0
		.amdhsa_private_segment_fixed_size 0
		.amdhsa_kernarg_size 280
		.amdhsa_user_sgpr_count 15
		.amdhsa_user_sgpr_dispatch_ptr 0
		.amdhsa_user_sgpr_queue_ptr 0
		.amdhsa_user_sgpr_kernarg_segment_ptr 1
		.amdhsa_user_sgpr_dispatch_id 0
		.amdhsa_user_sgpr_private_segment_size 0
		.amdhsa_wavefront_size32 1
		.amdhsa_uses_dynamic_stack 0
		.amdhsa_enable_private_segment 0
		.amdhsa_system_sgpr_workgroup_id_x 1
		.amdhsa_system_sgpr_workgroup_id_y 0
		.amdhsa_system_sgpr_workgroup_id_z 0
		.amdhsa_system_sgpr_workgroup_info 0
		.amdhsa_system_vgpr_workitem_id 0
		.amdhsa_next_free_vgpr 12
		.amdhsa_next_free_sgpr 16
		.amdhsa_reserve_vcc 1
		.amdhsa_float_round_mode_32 0
		.amdhsa_float_round_mode_16_64 0
		.amdhsa_float_denorm_mode_32 3
		.amdhsa_float_denorm_mode_16_64 3
		.amdhsa_dx10_clamp 1
		.amdhsa_ieee_mode 1
		.amdhsa_fp16_overflow 0
		.amdhsa_workgroup_processor_mode 1
		.amdhsa_memory_ordered 1
		.amdhsa_forward_progress 0
		.amdhsa_shared_vgpr_count 0
		.amdhsa_exception_fp_ieee_invalid_op 0
		.amdhsa_exception_fp_denorm_src 0
		.amdhsa_exception_fp_ieee_div_zero 0
		.amdhsa_exception_fp_ieee_overflow 0
		.amdhsa_exception_fp_ieee_underflow 0
		.amdhsa_exception_fp_ieee_inexact 0
		.amdhsa_exception_int_div_zero 0
	.end_amdhsa_kernel
	.section	.text._ZN4vllm17activation_kernelIfTnPFT_RKS1_EXadL_ZNS_17gelu_quick_kernelIfEES1_S3_EELb0ELb0EEEvPS1_PS2_i,"axG",@progbits,_ZN4vllm17activation_kernelIfTnPFT_RKS1_EXadL_ZNS_17gelu_quick_kernelIfEES1_S3_EELb0ELb0EEEvPS1_PS2_i,comdat
.Lfunc_end83:
	.size	_ZN4vllm17activation_kernelIfTnPFT_RKS1_EXadL_ZNS_17gelu_quick_kernelIfEES1_S3_EELb0ELb0EEEvPS1_PS2_i, .Lfunc_end83-_ZN4vllm17activation_kernelIfTnPFT_RKS1_EXadL_ZNS_17gelu_quick_kernelIfEES1_S3_EELb0ELb0EEEvPS1_PS2_i
                                        ; -- End function
	.section	.AMDGPU.csdata,"",@progbits
; Kernel info:
; codeLenInByte = 440
; NumSgprs: 18
; NumVgprs: 12
; ScratchSize: 0
; MemoryBound: 0
; FloatMode: 240
; IeeeMode: 1
; LDSByteSize: 0 bytes/workgroup (compile time only)
; SGPRBlocks: 2
; VGPRBlocks: 1
; NumSGPRsForWavesPerEU: 18
; NumVGPRsForWavesPerEU: 12
; Occupancy: 16
; WaveLimiterHint : 0
; COMPUTE_PGM_RSRC2:SCRATCH_EN: 0
; COMPUTE_PGM_RSRC2:USER_SGPR: 15
; COMPUTE_PGM_RSRC2:TRAP_HANDLER: 0
; COMPUTE_PGM_RSRC2:TGID_X_EN: 1
; COMPUTE_PGM_RSRC2:TGID_Y_EN: 0
; COMPUTE_PGM_RSRC2:TGID_Z_EN: 0
; COMPUTE_PGM_RSRC2:TIDIG_COMP_CNT: 0
	.section	.text._ZN4vllm17activation_kernelIN3c104HalfETnPFT_RKS3_EXadL_ZNS_17gelu_quick_kernelIS2_EES3_S5_EELb0ELb0EEEvPS3_PS4_i,"axG",@progbits,_ZN4vllm17activation_kernelIN3c104HalfETnPFT_RKS3_EXadL_ZNS_17gelu_quick_kernelIS2_EES3_S5_EELb0ELb0EEEvPS3_PS4_i,comdat
	.protected	_ZN4vllm17activation_kernelIN3c104HalfETnPFT_RKS3_EXadL_ZNS_17gelu_quick_kernelIS2_EES3_S5_EELb0ELb0EEEvPS3_PS4_i ; -- Begin function _ZN4vllm17activation_kernelIN3c104HalfETnPFT_RKS3_EXadL_ZNS_17gelu_quick_kernelIS2_EES3_S5_EELb0ELb0EEEvPS3_PS4_i
	.globl	_ZN4vllm17activation_kernelIN3c104HalfETnPFT_RKS3_EXadL_ZNS_17gelu_quick_kernelIS2_EES3_S5_EELb0ELb0EEEvPS3_PS4_i
	.p2align	8
	.type	_ZN4vllm17activation_kernelIN3c104HalfETnPFT_RKS3_EXadL_ZNS_17gelu_quick_kernelIS2_EES3_S5_EELb0ELb0EEEvPS3_PS4_i,@function
_ZN4vllm17activation_kernelIN3c104HalfETnPFT_RKS3_EXadL_ZNS_17gelu_quick_kernelIS2_EES3_S5_EELb0ELb0EEEvPS3_PS4_i: ; @_ZN4vllm17activation_kernelIN3c104HalfETnPFT_RKS3_EXadL_ZNS_17gelu_quick_kernelIS2_EES3_S5_EELb0ELb0EEEvPS3_PS4_i
; %bb.0:
	s_load_b32 s8, s[0:1], 0x10
	s_mov_b32 s2, exec_lo
	s_waitcnt lgkmcnt(0)
	v_cmpx_gt_i32_e64 s8, v0
	s_cbranch_execz .LBB84_14
; %bb.1:
	s_load_b32 s2, s[0:1], 0x24
	s_ashr_i32 s9, s8, 31
	s_waitcnt lgkmcnt(0)
	s_and_b32 s10, s2, 0xffff
	s_delay_alu instid0(SALU_CYCLE_1) | instskip(NEXT) | instid1(VALU_DEP_1)
	v_add_co_u32 v1, s2, v0, s10
	v_add_co_ci_u32_e64 v2, null, 0, 0, s2
	s_delay_alu instid0(VALU_DEP_1) | instskip(SKIP_1) | instid1(VALU_DEP_2)
	v_cmp_gt_i64_e64 s2, s[8:9], v[1:2]
	v_cmp_lt_i64_e32 vcc_lo, s[8:9], v[1:2]
	v_cndmask_b32_e64 v6, 0, 1, s2
	v_cndmask_b32_e32 v3, s9, v2, vcc_lo
	v_cndmask_b32_e32 v4, s8, v1, vcc_lo
	s_mov_b32 s2, exec_lo
	s_delay_alu instid0(VALU_DEP_3) | instskip(SKIP_2) | instid1(VALU_DEP_3)
	v_add_co_u32 v5, vcc_lo, v1, v6
	v_mov_b32_e32 v1, 0
	v_add_co_ci_u32_e32 v2, vcc_lo, 0, v2, vcc_lo
	v_sub_co_u32 v7, vcc_lo, v4, v5
                                        ; implicit-def: $vgpr4_vgpr5
	s_delay_alu instid0(VALU_DEP_2) | instskip(NEXT) | instid1(VALU_DEP_4)
	v_sub_co_ci_u32_e32 v3, vcc_lo, v3, v2, vcc_lo
	v_mov_b32_e32 v2, v1
	s_delay_alu instid0(VALU_DEP_1)
	v_cmpx_ne_u64_e32 0, v[2:3]
	s_xor_b32 s3, exec_lo, s2
	s_cbranch_execz .LBB84_3
; %bb.2:
	v_cvt_f32_u32_e32 v2, s10
	s_sub_u32 s2, 0, s10
	s_subb_u32 s4, 0, 0
	s_delay_alu instid0(VALU_DEP_1) | instskip(NEXT) | instid1(VALU_DEP_1)
	v_fmamk_f32 v2, 0, 0x4f800000, v2
	v_rcp_f32_e32 v2, v2
	s_waitcnt_depctr 0xfff
	v_mul_f32_e32 v2, 0x5f7ffffc, v2
	s_delay_alu instid0(VALU_DEP_1) | instskip(NEXT) | instid1(VALU_DEP_1)
	v_mul_f32_e32 v4, 0x2f800000, v2
	v_trunc_f32_e32 v4, v4
	s_delay_alu instid0(VALU_DEP_1) | instskip(SKIP_1) | instid1(VALU_DEP_2)
	v_fmamk_f32 v2, v4, 0xcf800000, v2
	v_cvt_u32_f32_e32 v4, v4
	v_cvt_u32_f32_e32 v2, v2
	s_delay_alu instid0(VALU_DEP_2) | instskip(NEXT) | instid1(VALU_DEP_2)
	v_mul_lo_u32 v5, s2, v4
	v_mul_hi_u32 v8, s2, v2
	v_mul_lo_u32 v9, s4, v2
	s_delay_alu instid0(VALU_DEP_2) | instskip(SKIP_1) | instid1(VALU_DEP_2)
	v_add_nc_u32_e32 v5, v8, v5
	v_mul_lo_u32 v8, s2, v2
	v_add_nc_u32_e32 v5, v5, v9
	s_delay_alu instid0(VALU_DEP_2) | instskip(NEXT) | instid1(VALU_DEP_2)
	v_mul_hi_u32 v9, v2, v8
	v_mul_lo_u32 v10, v2, v5
	v_mul_hi_u32 v11, v2, v5
	v_mul_hi_u32 v12, v4, v8
	v_mul_lo_u32 v8, v4, v8
	v_mul_hi_u32 v13, v4, v5
	v_mul_lo_u32 v5, v4, v5
	v_add_co_u32 v9, vcc_lo, v9, v10
	v_add_co_ci_u32_e32 v10, vcc_lo, 0, v11, vcc_lo
	s_delay_alu instid0(VALU_DEP_2) | instskip(NEXT) | instid1(VALU_DEP_2)
	v_add_co_u32 v8, vcc_lo, v9, v8
	v_add_co_ci_u32_e32 v8, vcc_lo, v10, v12, vcc_lo
	v_add_co_ci_u32_e32 v9, vcc_lo, 0, v13, vcc_lo
	s_delay_alu instid0(VALU_DEP_2) | instskip(NEXT) | instid1(VALU_DEP_2)
	v_add_co_u32 v5, vcc_lo, v8, v5
	v_add_co_ci_u32_e32 v8, vcc_lo, 0, v9, vcc_lo
	s_delay_alu instid0(VALU_DEP_2) | instskip(NEXT) | instid1(VALU_DEP_2)
	v_add_co_u32 v2, vcc_lo, v2, v5
	v_add_co_ci_u32_e32 v4, vcc_lo, v4, v8, vcc_lo
	s_delay_alu instid0(VALU_DEP_2) | instskip(SKIP_1) | instid1(VALU_DEP_3)
	v_mul_hi_u32 v5, s2, v2
	v_mul_lo_u32 v9, s4, v2
	v_mul_lo_u32 v8, s2, v4
	s_delay_alu instid0(VALU_DEP_1) | instskip(SKIP_1) | instid1(VALU_DEP_2)
	v_add_nc_u32_e32 v5, v5, v8
	v_mul_lo_u32 v8, s2, v2
	v_add_nc_u32_e32 v5, v5, v9
	s_delay_alu instid0(VALU_DEP_2) | instskip(NEXT) | instid1(VALU_DEP_2)
	v_mul_hi_u32 v9, v2, v8
	v_mul_lo_u32 v10, v2, v5
	v_mul_hi_u32 v11, v2, v5
	v_mul_hi_u32 v12, v4, v8
	v_mul_lo_u32 v8, v4, v8
	v_mul_hi_u32 v13, v4, v5
	v_mul_lo_u32 v5, v4, v5
	v_add_co_u32 v9, vcc_lo, v9, v10
	v_add_co_ci_u32_e32 v10, vcc_lo, 0, v11, vcc_lo
	s_delay_alu instid0(VALU_DEP_2) | instskip(NEXT) | instid1(VALU_DEP_2)
	v_add_co_u32 v8, vcc_lo, v9, v8
	v_add_co_ci_u32_e32 v8, vcc_lo, v10, v12, vcc_lo
	v_add_co_ci_u32_e32 v9, vcc_lo, 0, v13, vcc_lo
	s_delay_alu instid0(VALU_DEP_2) | instskip(NEXT) | instid1(VALU_DEP_2)
	v_add_co_u32 v5, vcc_lo, v8, v5
	v_add_co_ci_u32_e32 v8, vcc_lo, 0, v9, vcc_lo
	s_delay_alu instid0(VALU_DEP_2) | instskip(NEXT) | instid1(VALU_DEP_2)
	v_add_co_u32 v2, vcc_lo, v2, v5
	v_add_co_ci_u32_e32 v12, vcc_lo, v4, v8, vcc_lo
	s_delay_alu instid0(VALU_DEP_2) | instskip(SKIP_1) | instid1(VALU_DEP_3)
	v_mul_hi_u32 v13, v7, v2
	v_mad_u64_u32 v[8:9], null, v3, v2, 0
	v_mad_u64_u32 v[4:5], null, v7, v12, 0
	;; [unrolled: 1-line block ×3, first 2 shown]
	s_delay_alu instid0(VALU_DEP_2) | instskip(NEXT) | instid1(VALU_DEP_3)
	v_add_co_u32 v2, vcc_lo, v13, v4
	v_add_co_ci_u32_e32 v4, vcc_lo, 0, v5, vcc_lo
	s_delay_alu instid0(VALU_DEP_2) | instskip(NEXT) | instid1(VALU_DEP_2)
	v_add_co_u32 v2, vcc_lo, v2, v8
	v_add_co_ci_u32_e32 v2, vcc_lo, v4, v9, vcc_lo
	v_add_co_ci_u32_e32 v4, vcc_lo, 0, v11, vcc_lo
	s_delay_alu instid0(VALU_DEP_2) | instskip(NEXT) | instid1(VALU_DEP_2)
	v_add_co_u32 v10, vcc_lo, v2, v10
	v_add_co_ci_u32_e32 v11, vcc_lo, 0, v4, vcc_lo
	s_delay_alu instid0(VALU_DEP_2) | instskip(NEXT) | instid1(VALU_DEP_1)
	v_mad_u64_u32 v[4:5], null, s10, v10, 0
	v_mov_b32_e32 v2, v5
	s_delay_alu instid0(VALU_DEP_1) | instskip(NEXT) | instid1(VALU_DEP_3)
	v_mad_u64_u32 v[8:9], null, s10, v11, v[2:3]
	v_sub_co_u32 v2, vcc_lo, v7, v4
	s_delay_alu instid0(VALU_DEP_2) | instskip(NEXT) | instid1(VALU_DEP_2)
	v_sub_co_ci_u32_e32 v3, vcc_lo, v3, v8, vcc_lo
	v_sub_co_u32 v4, vcc_lo, v2, s10
	s_delay_alu instid0(VALU_DEP_2) | instskip(NEXT) | instid1(VALU_DEP_2)
	v_subrev_co_ci_u32_e32 v5, vcc_lo, 0, v3, vcc_lo
	v_cmp_le_u32_e32 vcc_lo, s10, v4
	v_cmp_eq_u32_e64 s2, 0, v3
	v_cndmask_b32_e64 v4, 0, -1, vcc_lo
	v_add_co_u32 v7, vcc_lo, v10, 2
	v_add_co_ci_u32_e32 v8, vcc_lo, 0, v11, vcc_lo
	v_cmp_le_u32_e32 vcc_lo, s10, v2
	v_cndmask_b32_e64 v2, 0, -1, vcc_lo
	v_cmp_eq_u32_e32 vcc_lo, 0, v5
	s_delay_alu instid0(VALU_DEP_2) | instskip(SKIP_3) | instid1(VALU_DEP_3)
	v_cndmask_b32_e64 v2, -1, v2, s2
	v_cndmask_b32_e32 v4, -1, v4, vcc_lo
	v_add_co_u32 v5, vcc_lo, v10, 1
	v_add_co_ci_u32_e32 v9, vcc_lo, 0, v11, vcc_lo
	v_cmp_ne_u32_e32 vcc_lo, 0, v4
	s_delay_alu instid0(VALU_DEP_2) | instskip(NEXT) | instid1(VALU_DEP_4)
	v_cndmask_b32_e32 v3, v9, v8, vcc_lo
	v_cndmask_b32_e32 v4, v5, v7, vcc_lo
	v_cmp_ne_u32_e32 vcc_lo, 0, v2
                                        ; implicit-def: $vgpr7
	s_delay_alu instid0(VALU_DEP_2)
	v_dual_cndmask_b32 v5, v11, v3 :: v_dual_cndmask_b32 v4, v10, v4
.LBB84_3:
	s_and_not1_saveexec_b32 s2, s3
	s_cbranch_execz .LBB84_5
; %bb.4:
	v_cvt_f32_u32_e32 v2, s10
	s_sub_i32 s3, 0, s10
	s_delay_alu instid0(VALU_DEP_1) | instskip(SKIP_2) | instid1(VALU_DEP_1)
	v_rcp_iflag_f32_e32 v2, v2
	s_waitcnt_depctr 0xfff
	v_mul_f32_e32 v2, 0x4f7ffffe, v2
	v_cvt_u32_f32_e32 v2, v2
	s_delay_alu instid0(VALU_DEP_1) | instskip(NEXT) | instid1(VALU_DEP_1)
	v_mul_lo_u32 v3, s3, v2
	v_mul_hi_u32 v3, v2, v3
	s_delay_alu instid0(VALU_DEP_1) | instskip(NEXT) | instid1(VALU_DEP_1)
	v_add_nc_u32_e32 v2, v2, v3
	v_mul_hi_u32 v2, v7, v2
	s_delay_alu instid0(VALU_DEP_1) | instskip(SKIP_1) | instid1(VALU_DEP_2)
	v_mul_lo_u32 v3, v2, s10
	v_add_nc_u32_e32 v4, 1, v2
	v_sub_nc_u32_e32 v3, v7, v3
	s_delay_alu instid0(VALU_DEP_1) | instskip(SKIP_1) | instid1(VALU_DEP_2)
	v_subrev_nc_u32_e32 v5, s10, v3
	v_cmp_le_u32_e32 vcc_lo, s10, v3
	v_cndmask_b32_e32 v3, v3, v5, vcc_lo
	v_dual_mov_b32 v5, 0 :: v_dual_cndmask_b32 v2, v2, v4
	s_delay_alu instid0(VALU_DEP_2) | instskip(NEXT) | instid1(VALU_DEP_2)
	v_cmp_le_u32_e32 vcc_lo, s10, v3
	v_add_nc_u32_e32 v4, 1, v2
	s_delay_alu instid0(VALU_DEP_1)
	v_cndmask_b32_e32 v4, v2, v4, vcc_lo
.LBB84_5:
	s_or_b32 exec_lo, exec_lo, s2
	s_load_b128 s[4:7], s[0:1], 0x0
	s_delay_alu instid0(VALU_DEP_1) | instskip(SKIP_2) | instid1(VALU_DEP_3)
	v_add_co_u32 v2, vcc_lo, v4, v6
	v_add_co_ci_u32_e32 v3, vcc_lo, 0, v5, vcc_lo
	v_cmp_ne_u16_e64 s2, s10, 1
	v_add_co_u32 v2, vcc_lo, v2, 1
	s_delay_alu instid0(VALU_DEP_3) | instskip(SKIP_2) | instid1(VALU_DEP_1)
	v_add_co_ci_u32_e32 v3, vcc_lo, 0, v3, vcc_lo
	s_mul_i32 s0, s15, s8
                                        ; kill: def $vgpr4_vgpr5 killed $sgpr0_sgpr1 killed $exec
	s_mov_b32 s1, 0
	v_cmp_gt_u64_e32 vcc_lo, 2, v[2:3]
	v_mov_b32_e32 v5, v3
	s_mov_b32 s11, s1
	s_or_b32 s12, vcc_lo, s2
                                        ; implicit-def: $sgpr2_sgpr3
	s_delay_alu instid0(SALU_CYCLE_1) | instskip(NEXT) | instid1(SALU_CYCLE_1)
	s_and_saveexec_b32 s13, s12
	s_xor_b32 s12, exec_lo, s13
; %bb.6:
	s_mov_b32 s11, exec_lo
	s_lshl_b64 s[2:3], s[0:1], 1
                                        ; implicit-def: $vgpr2_vgpr3
                                        ; implicit-def: $vgpr5
; %bb.7:
	s_or_saveexec_b32 s12, s12
	v_dual_mov_b32 v7, s3 :: v_dual_mov_b32 v6, s2
	s_xor_b32 exec_lo, exec_lo, s12
	s_cbranch_execz .LBB84_11
; %bb.8:
	v_lshlrev_b32_e32 v6, 1, v0
	v_and_b32_e32 v4, -2, v2
	s_lshl_b64 s[2:3], s[0:1], 1
	s_lshl_b32 s13, s10, 2
	s_delay_alu instid0(VALU_DEP_2) | instskip(NEXT) | instid1(VALU_DEP_1)
	v_add_co_u32 v8, s0, v6, s2
	v_add_co_ci_u32_e64 v9, null, 0, s3, s0
	v_dual_mov_b32 v7, v5 :: v_dual_mov_b32 v6, v4
.LBB84_9:                               ; =>This Inner Loop Header: Depth=1
	s_waitcnt lgkmcnt(0)
	s_delay_alu instid0(VALU_DEP_3) | instskip(NEXT) | instid1(VALU_DEP_3)
	v_add_co_u32 v10, vcc_lo, s6, v8
	v_add_co_ci_u32_e32 v11, vcc_lo, s7, v9, vcc_lo
	s_delay_alu instid0(VALU_DEP_3)
	v_add_co_u32 v6, vcc_lo, v6, -2
	v_add_co_ci_u32_e32 v7, vcc_lo, -1, v7, vcc_lo
	global_load_b32 v10, v[10:11], off
	s_waitcnt vmcnt(0)
	v_lshrrev_b32_e32 v11, 16, v10
	v_cvt_f32_f16_e32 v12, v10
	s_delay_alu instid0(VALU_DEP_2) | instskip(NEXT) | instid1(VALU_DEP_1)
	v_cvt_f32_f16_e32 v11, v11
	v_dual_mul_f32 v10, 0xbfd9db23, v12 :: v_dual_mul_f32 v13, 0xbfd9db23, v11
	s_delay_alu instid0(VALU_DEP_1) | instskip(SKIP_1) | instid1(VALU_DEP_3)
	v_mul_f32_e32 v14, 0x3fb8aa3b, v10
	v_cmp_ngt_f32_e32 vcc_lo, 0xc2ce8ed0, v10
	v_mul_f32_e32 v15, 0x3fb8aa3b, v13
	s_delay_alu instid0(VALU_DEP_3) | instskip(SKIP_2) | instid1(VALU_DEP_4)
	v_fma_f32 v16, 0x3fb8aa3b, v10, -v14
	v_rndne_f32_e32 v17, v14
	v_cmp_ngt_f32_e64 s0, 0xc2ce8ed0, v13
	v_fma_f32 v18, 0x3fb8aa3b, v13, -v15
	v_rndne_f32_e32 v19, v15
	v_fmac_f32_e32 v16, 0x32a5705f, v10
	s_delay_alu instid0(VALU_DEP_2) | instskip(SKIP_2) | instid1(VALU_DEP_2)
	v_dual_fmac_f32 v18, 0x32a5705f, v13 :: v_dual_sub_f32 v15, v15, v19
	v_sub_f32_e32 v14, v14, v17
	v_cvt_i32_f32_e32 v17, v17
	v_dual_add_f32 v15, v15, v18 :: v_dual_add_f32 v14, v14, v16
	v_cvt_i32_f32_e32 v16, v19
	s_delay_alu instid0(VALU_DEP_2) | instskip(NEXT) | instid1(VALU_DEP_2)
	v_exp_f32_e32 v15, v15
	v_exp_f32_e32 v14, v14
	s_waitcnt_depctr 0xfff
	v_ldexp_f32 v15, v15, v16
	v_ldexp_f32 v14, v14, v17
	s_delay_alu instid0(VALU_DEP_1) | instskip(SKIP_1) | instid1(VALU_DEP_4)
	v_cndmask_b32_e32 v14, 0, v14, vcc_lo
	v_cmp_nlt_f32_e32 vcc_lo, 0x42b17218, v10
	v_cndmask_b32_e64 v10, 0, v15, s0
	s_delay_alu instid0(VALU_DEP_3) | instskip(SKIP_1) | instid1(VALU_DEP_2)
	v_cndmask_b32_e32 v14, 0x7f800000, v14, vcc_lo
	v_cmp_nlt_f32_e32 vcc_lo, 0x42b17218, v13
	v_add_f32_e32 v13, 1.0, v14
	s_delay_alu instid0(VALU_DEP_4) | instskip(NEXT) | instid1(VALU_DEP_2)
	v_cndmask_b32_e32 v10, 0x7f800000, v10, vcc_lo
	v_div_scale_f32 v15, s0, v12, v13, v12
	s_delay_alu instid0(VALU_DEP_2) | instskip(SKIP_1) | instid1(VALU_DEP_2)
	v_add_f32_e32 v14, 1.0, v10
	v_div_scale_f32 v10, null, v13, v13, v12
	v_div_scale_f32 v16, null, v14, v14, v11
	s_delay_alu instid0(VALU_DEP_2) | instskip(SKIP_1) | instid1(VALU_DEP_2)
	v_rcp_f32_e32 v18, v10
	v_div_scale_f32 v19, vcc_lo, v11, v14, v11
	v_rcp_f32_e32 v17, v16
	s_waitcnt_depctr 0xfff
	v_fma_f32 v20, -v10, v18, 1.0
	v_fma_f32 v21, -v16, v17, 1.0
	s_delay_alu instid0(VALU_DEP_1) | instskip(NEXT) | instid1(VALU_DEP_1)
	v_dual_fmac_f32 v18, v20, v18 :: v_dual_fmac_f32 v17, v21, v17
	v_mul_f32_e32 v20, v15, v18
	s_delay_alu instid0(VALU_DEP_2) | instskip(NEXT) | instid1(VALU_DEP_2)
	v_mul_f32_e32 v21, v19, v17
	v_fma_f32 v22, -v10, v20, v15
	s_delay_alu instid0(VALU_DEP_2) | instskip(NEXT) | instid1(VALU_DEP_1)
	v_fma_f32 v23, -v16, v21, v19
	v_dual_fmac_f32 v20, v22, v18 :: v_dual_fmac_f32 v21, v23, v17
	s_delay_alu instid0(VALU_DEP_1) | instskip(NEXT) | instid1(VALU_DEP_2)
	v_fma_f32 v10, -v10, v20, v15
	v_fma_f32 v15, -v16, v21, v19
	s_delay_alu instid0(VALU_DEP_1) | instskip(SKIP_1) | instid1(VALU_DEP_3)
	v_div_fmas_f32 v15, v15, v17, v21
	s_mov_b32 vcc_lo, s0
	v_div_fmas_f32 v16, v10, v18, v20
	v_add_co_u32 v10, vcc_lo, s4, v8
	s_delay_alu instid0(VALU_DEP_3) | instskip(SKIP_1) | instid1(VALU_DEP_4)
	v_div_fixup_f32 v14, v15, v14, v11
	v_add_co_ci_u32_e32 v11, vcc_lo, s5, v9, vcc_lo
	v_div_fixup_f32 v12, v16, v13, v12
	v_cmp_eq_u64_e32 vcc_lo, 0, v[6:7]
	s_delay_alu instid0(VALU_DEP_4) | instskip(SKIP_1) | instid1(VALU_DEP_4)
	v_cvt_f16_f32_e32 v13, v14
	v_add_co_u32 v8, s0, v8, s13
	v_cvt_f16_f32_e32 v12, v12
	v_add_co_ci_u32_e64 v9, s0, 0, v9, s0
	s_or_b32 s1, vcc_lo, s1
	s_delay_alu instid0(VALU_DEP_2)
	v_pack_b32_f16 v12, v12, v13
	global_store_b32 v[10:11], v12, off
	s_and_not1_b32 exec_lo, exec_lo, s1
	s_cbranch_execnz .LBB84_9
; %bb.10:
	s_or_b32 exec_lo, exec_lo, s1
	v_mad_u64_u32 v[8:9], null, v4, s10, v[0:1]
	v_cmp_ne_u64_e32 vcc_lo, v[2:3], v[4:5]
	s_and_not1_b32 s0, s11, exec_lo
	s_and_b32 s1, vcc_lo, exec_lo
	s_delay_alu instid0(VALU_DEP_2) | instskip(SKIP_1) | instid1(VALU_DEP_1)
	v_mov_b32_e32 v0, v9
	s_or_b32 s11, s0, s1
	v_mad_u64_u32 v[6:7], null, v5, s10, v[0:1]
	s_delay_alu instid0(VALU_DEP_1) | instskip(SKIP_1) | instid1(VALU_DEP_2)
	v_mov_b32_e32 v9, v6
	v_dual_mov_b32 v7, s3 :: v_dual_mov_b32 v6, s2
	v_dual_mov_b32 v0, v8 :: v_dual_mov_b32 v1, v9
.LBB84_11:
	s_or_b32 exec_lo, exec_lo, s12
	s_delay_alu instid0(SALU_CYCLE_1)
	s_and_b32 exec_lo, exec_lo, s11
	s_cbranch_execz .LBB84_14
; %bb.12:
	s_delay_alu instid0(VALU_DEP_1) | instskip(SKIP_2) | instid1(VALU_DEP_1)
	v_lshlrev_b64 v[2:3], 1, v[0:1]
	s_lshl_b32 s1, s10, 1
	s_mov_b32 s2, 0
	v_add_co_u32 v2, vcc_lo, v2, v6
	s_delay_alu instid0(VALU_DEP_2)
	v_add_co_ci_u32_e32 v3, vcc_lo, v3, v7, vcc_lo
.LBB84_13:                              ; =>This Inner Loop Header: Depth=1
	s_waitcnt lgkmcnt(0)
	s_delay_alu instid0(VALU_DEP_2) | instskip(NEXT) | instid1(VALU_DEP_2)
	v_add_co_u32 v4, vcc_lo, s6, v2
	v_add_co_ci_u32_e32 v5, vcc_lo, s7, v3, vcc_lo
	v_add_co_u32 v0, s0, v0, s10
	s_delay_alu instid0(VALU_DEP_1) | instskip(SKIP_3) | instid1(VALU_DEP_1)
	v_add_co_ci_u32_e64 v1, s0, 0, v1, s0
	global_load_u16 v4, v[4:5], off
	s_waitcnt vmcnt(0)
	v_cvt_f32_f16_e32 v6, v4
	v_mul_f32_e32 v4, 0xbfd9db23, v6
	s_delay_alu instid0(VALU_DEP_1) | instskip(NEXT) | instid1(VALU_DEP_1)
	v_mul_f32_e32 v5, 0x3fb8aa3b, v4
	v_fma_f32 v7, 0x3fb8aa3b, v4, -v5
	v_rndne_f32_e32 v8, v5
	s_delay_alu instid0(VALU_DEP_1) | instskip(NEXT) | instid1(VALU_DEP_3)
	v_sub_f32_e32 v5, v5, v8
	v_fmac_f32_e32 v7, 0x32a5705f, v4
	v_cmp_ngt_f32_e32 vcc_lo, 0xc2ce8ed0, v4
	s_delay_alu instid0(VALU_DEP_2) | instskip(SKIP_1) | instid1(VALU_DEP_2)
	v_add_f32_e32 v5, v5, v7
	v_cvt_i32_f32_e32 v7, v8
	v_exp_f32_e32 v5, v5
	s_waitcnt_depctr 0xfff
	v_ldexp_f32 v5, v5, v7
	s_delay_alu instid0(VALU_DEP_1) | instskip(SKIP_1) | instid1(VALU_DEP_2)
	v_cndmask_b32_e32 v5, 0, v5, vcc_lo
	v_cmp_nlt_f32_e32 vcc_lo, 0x42b17218, v4
	v_cndmask_b32_e32 v4, 0x7f800000, v5, vcc_lo
	s_delay_alu instid0(VALU_DEP_1) | instskip(NEXT) | instid1(VALU_DEP_1)
	v_add_f32_e32 v7, 1.0, v4
	v_div_scale_f32 v4, null, v7, v7, v6
	v_div_scale_f32 v9, vcc_lo, v6, v7, v6
	s_delay_alu instid0(VALU_DEP_2) | instskip(SKIP_2) | instid1(VALU_DEP_1)
	v_rcp_f32_e32 v5, v4
	s_waitcnt_depctr 0xfff
	v_fma_f32 v8, -v4, v5, 1.0
	v_fmac_f32_e32 v5, v8, v5
	s_delay_alu instid0(VALU_DEP_1) | instskip(NEXT) | instid1(VALU_DEP_1)
	v_mul_f32_e32 v8, v9, v5
	v_fma_f32 v10, -v4, v8, v9
	s_delay_alu instid0(VALU_DEP_1) | instskip(NEXT) | instid1(VALU_DEP_1)
	v_fmac_f32_e32 v8, v10, v5
	v_fma_f32 v4, -v4, v8, v9
	s_delay_alu instid0(VALU_DEP_1) | instskip(SKIP_2) | instid1(VALU_DEP_3)
	v_div_fmas_f32 v8, v4, v5, v8
	v_add_co_u32 v4, vcc_lo, s4, v2
	v_add_co_ci_u32_e32 v5, vcc_lo, s5, v3, vcc_lo
	v_div_fixup_f32 v6, v8, v7, v6
	v_cmp_le_i64_e32 vcc_lo, s[8:9], v[0:1]
	v_add_co_u32 v2, s0, v2, s1
	s_delay_alu instid0(VALU_DEP_1) | instskip(NEXT) | instid1(VALU_DEP_4)
	v_add_co_ci_u32_e64 v3, s0, 0, v3, s0
	v_cvt_f16_f32_e32 v6, v6
	s_or_b32 s2, vcc_lo, s2
	global_store_b16 v[4:5], v6, off
	s_and_not1_b32 exec_lo, exec_lo, s2
	s_cbranch_execnz .LBB84_13
.LBB84_14:
	s_nop 0
	s_sendmsg sendmsg(MSG_DEALLOC_VGPRS)
	s_endpgm
	.section	.rodata,"a",@progbits
	.p2align	6, 0x0
	.amdhsa_kernel _ZN4vllm17activation_kernelIN3c104HalfETnPFT_RKS3_EXadL_ZNS_17gelu_quick_kernelIS2_EES3_S5_EELb0ELb0EEEvPS3_PS4_i
		.amdhsa_group_segment_fixed_size 0
		.amdhsa_private_segment_fixed_size 0
		.amdhsa_kernarg_size 280
		.amdhsa_user_sgpr_count 15
		.amdhsa_user_sgpr_dispatch_ptr 0
		.amdhsa_user_sgpr_queue_ptr 0
		.amdhsa_user_sgpr_kernarg_segment_ptr 1
		.amdhsa_user_sgpr_dispatch_id 0
		.amdhsa_user_sgpr_private_segment_size 0
		.amdhsa_wavefront_size32 1
		.amdhsa_uses_dynamic_stack 0
		.amdhsa_enable_private_segment 0
		.amdhsa_system_sgpr_workgroup_id_x 1
		.amdhsa_system_sgpr_workgroup_id_y 0
		.amdhsa_system_sgpr_workgroup_id_z 0
		.amdhsa_system_sgpr_workgroup_info 0
		.amdhsa_system_vgpr_workitem_id 0
		.amdhsa_next_free_vgpr 24
		.amdhsa_next_free_sgpr 16
		.amdhsa_reserve_vcc 1
		.amdhsa_float_round_mode_32 0
		.amdhsa_float_round_mode_16_64 0
		.amdhsa_float_denorm_mode_32 3
		.amdhsa_float_denorm_mode_16_64 3
		.amdhsa_dx10_clamp 1
		.amdhsa_ieee_mode 1
		.amdhsa_fp16_overflow 0
		.amdhsa_workgroup_processor_mode 1
		.amdhsa_memory_ordered 1
		.amdhsa_forward_progress 0
		.amdhsa_shared_vgpr_count 0
		.amdhsa_exception_fp_ieee_invalid_op 0
		.amdhsa_exception_fp_denorm_src 0
		.amdhsa_exception_fp_ieee_div_zero 0
		.amdhsa_exception_fp_ieee_overflow 0
		.amdhsa_exception_fp_ieee_underflow 0
		.amdhsa_exception_fp_ieee_inexact 0
		.amdhsa_exception_int_div_zero 0
	.end_amdhsa_kernel
	.section	.text._ZN4vllm17activation_kernelIN3c104HalfETnPFT_RKS3_EXadL_ZNS_17gelu_quick_kernelIS2_EES3_S5_EELb0ELb0EEEvPS3_PS4_i,"axG",@progbits,_ZN4vllm17activation_kernelIN3c104HalfETnPFT_RKS3_EXadL_ZNS_17gelu_quick_kernelIS2_EES3_S5_EELb0ELb0EEEvPS3_PS4_i,comdat
.Lfunc_end84:
	.size	_ZN4vllm17activation_kernelIN3c104HalfETnPFT_RKS3_EXadL_ZNS_17gelu_quick_kernelIS2_EES3_S5_EELb0ELb0EEEvPS3_PS4_i, .Lfunc_end84-_ZN4vllm17activation_kernelIN3c104HalfETnPFT_RKS3_EXadL_ZNS_17gelu_quick_kernelIS2_EES3_S5_EELb0ELb0EEEvPS3_PS4_i
                                        ; -- End function
	.section	.AMDGPU.csdata,"",@progbits
; Kernel info:
; codeLenInByte = 2152
; NumSgprs: 18
; NumVgprs: 24
; ScratchSize: 0
; MemoryBound: 0
; FloatMode: 240
; IeeeMode: 1
; LDSByteSize: 0 bytes/workgroup (compile time only)
; SGPRBlocks: 2
; VGPRBlocks: 2
; NumSGPRsForWavesPerEU: 18
; NumVGPRsForWavesPerEU: 24
; Occupancy: 16
; WaveLimiterHint : 0
; COMPUTE_PGM_RSRC2:SCRATCH_EN: 0
; COMPUTE_PGM_RSRC2:USER_SGPR: 15
; COMPUTE_PGM_RSRC2:TRAP_HANDLER: 0
; COMPUTE_PGM_RSRC2:TGID_X_EN: 1
; COMPUTE_PGM_RSRC2:TGID_Y_EN: 0
; COMPUTE_PGM_RSRC2:TGID_Z_EN: 0
; COMPUTE_PGM_RSRC2:TIDIG_COMP_CNT: 0
	.section	.text._ZN4vllm17activation_kernelIN3c108BFloat16ETnPFT_RKS3_EXadL_ZNS_17gelu_quick_kernelIS2_EES3_S5_EELb0ELb0EEEvPS3_PS4_i,"axG",@progbits,_ZN4vllm17activation_kernelIN3c108BFloat16ETnPFT_RKS3_EXadL_ZNS_17gelu_quick_kernelIS2_EES3_S5_EELb0ELb0EEEvPS3_PS4_i,comdat
	.protected	_ZN4vllm17activation_kernelIN3c108BFloat16ETnPFT_RKS3_EXadL_ZNS_17gelu_quick_kernelIS2_EES3_S5_EELb0ELb0EEEvPS3_PS4_i ; -- Begin function _ZN4vllm17activation_kernelIN3c108BFloat16ETnPFT_RKS3_EXadL_ZNS_17gelu_quick_kernelIS2_EES3_S5_EELb0ELb0EEEvPS3_PS4_i
	.globl	_ZN4vllm17activation_kernelIN3c108BFloat16ETnPFT_RKS3_EXadL_ZNS_17gelu_quick_kernelIS2_EES3_S5_EELb0ELb0EEEvPS3_PS4_i
	.p2align	8
	.type	_ZN4vllm17activation_kernelIN3c108BFloat16ETnPFT_RKS3_EXadL_ZNS_17gelu_quick_kernelIS2_EES3_S5_EELb0ELb0EEEvPS3_PS4_i,@function
_ZN4vllm17activation_kernelIN3c108BFloat16ETnPFT_RKS3_EXadL_ZNS_17gelu_quick_kernelIS2_EES3_S5_EELb0ELb0EEEvPS3_PS4_i: ; @_ZN4vllm17activation_kernelIN3c108BFloat16ETnPFT_RKS3_EXadL_ZNS_17gelu_quick_kernelIS2_EES3_S5_EELb0ELb0EEEvPS3_PS4_i
; %bb.0:
	s_load_b32 s8, s[0:1], 0x10
	s_mov_b32 s2, exec_lo
	s_waitcnt lgkmcnt(0)
	v_cmpx_gt_i32_e64 s8, v0
	s_cbranch_execz .LBB85_14
; %bb.1:
	s_load_b32 s2, s[0:1], 0x24
	s_ashr_i32 s9, s8, 31
	s_waitcnt lgkmcnt(0)
	s_and_b32 s10, s2, 0xffff
	s_delay_alu instid0(SALU_CYCLE_1) | instskip(NEXT) | instid1(VALU_DEP_1)
	v_add_co_u32 v1, s2, v0, s10
	v_add_co_ci_u32_e64 v2, null, 0, 0, s2
	s_delay_alu instid0(VALU_DEP_1) | instskip(SKIP_1) | instid1(VALU_DEP_2)
	v_cmp_gt_i64_e64 s2, s[8:9], v[1:2]
	v_cmp_lt_i64_e32 vcc_lo, s[8:9], v[1:2]
	v_cndmask_b32_e64 v6, 0, 1, s2
	v_cndmask_b32_e32 v3, s9, v2, vcc_lo
	v_cndmask_b32_e32 v4, s8, v1, vcc_lo
	s_mov_b32 s2, exec_lo
	s_delay_alu instid0(VALU_DEP_3) | instskip(SKIP_2) | instid1(VALU_DEP_3)
	v_add_co_u32 v5, vcc_lo, v1, v6
	v_mov_b32_e32 v1, 0
	v_add_co_ci_u32_e32 v2, vcc_lo, 0, v2, vcc_lo
	v_sub_co_u32 v7, vcc_lo, v4, v5
                                        ; implicit-def: $vgpr4_vgpr5
	s_delay_alu instid0(VALU_DEP_2) | instskip(NEXT) | instid1(VALU_DEP_4)
	v_sub_co_ci_u32_e32 v3, vcc_lo, v3, v2, vcc_lo
	v_mov_b32_e32 v2, v1
	s_delay_alu instid0(VALU_DEP_1)
	v_cmpx_ne_u64_e32 0, v[2:3]
	s_xor_b32 s3, exec_lo, s2
	s_cbranch_execz .LBB85_3
; %bb.2:
	v_cvt_f32_u32_e32 v2, s10
	s_sub_u32 s2, 0, s10
	s_subb_u32 s4, 0, 0
	s_delay_alu instid0(VALU_DEP_1) | instskip(NEXT) | instid1(VALU_DEP_1)
	v_fmamk_f32 v2, 0, 0x4f800000, v2
	v_rcp_f32_e32 v2, v2
	s_waitcnt_depctr 0xfff
	v_mul_f32_e32 v2, 0x5f7ffffc, v2
	s_delay_alu instid0(VALU_DEP_1) | instskip(NEXT) | instid1(VALU_DEP_1)
	v_mul_f32_e32 v4, 0x2f800000, v2
	v_trunc_f32_e32 v4, v4
	s_delay_alu instid0(VALU_DEP_1) | instskip(SKIP_1) | instid1(VALU_DEP_2)
	v_fmamk_f32 v2, v4, 0xcf800000, v2
	v_cvt_u32_f32_e32 v4, v4
	v_cvt_u32_f32_e32 v2, v2
	s_delay_alu instid0(VALU_DEP_2) | instskip(NEXT) | instid1(VALU_DEP_2)
	v_mul_lo_u32 v5, s2, v4
	v_mul_hi_u32 v8, s2, v2
	v_mul_lo_u32 v9, s4, v2
	s_delay_alu instid0(VALU_DEP_2) | instskip(SKIP_1) | instid1(VALU_DEP_2)
	v_add_nc_u32_e32 v5, v8, v5
	v_mul_lo_u32 v8, s2, v2
	v_add_nc_u32_e32 v5, v5, v9
	s_delay_alu instid0(VALU_DEP_2) | instskip(NEXT) | instid1(VALU_DEP_2)
	v_mul_hi_u32 v9, v2, v8
	v_mul_lo_u32 v10, v2, v5
	v_mul_hi_u32 v11, v2, v5
	v_mul_hi_u32 v12, v4, v8
	v_mul_lo_u32 v8, v4, v8
	v_mul_hi_u32 v13, v4, v5
	v_mul_lo_u32 v5, v4, v5
	v_add_co_u32 v9, vcc_lo, v9, v10
	v_add_co_ci_u32_e32 v10, vcc_lo, 0, v11, vcc_lo
	s_delay_alu instid0(VALU_DEP_2) | instskip(NEXT) | instid1(VALU_DEP_2)
	v_add_co_u32 v8, vcc_lo, v9, v8
	v_add_co_ci_u32_e32 v8, vcc_lo, v10, v12, vcc_lo
	v_add_co_ci_u32_e32 v9, vcc_lo, 0, v13, vcc_lo
	s_delay_alu instid0(VALU_DEP_2) | instskip(NEXT) | instid1(VALU_DEP_2)
	v_add_co_u32 v5, vcc_lo, v8, v5
	v_add_co_ci_u32_e32 v8, vcc_lo, 0, v9, vcc_lo
	s_delay_alu instid0(VALU_DEP_2) | instskip(NEXT) | instid1(VALU_DEP_2)
	v_add_co_u32 v2, vcc_lo, v2, v5
	v_add_co_ci_u32_e32 v4, vcc_lo, v4, v8, vcc_lo
	s_delay_alu instid0(VALU_DEP_2) | instskip(SKIP_1) | instid1(VALU_DEP_3)
	v_mul_hi_u32 v5, s2, v2
	v_mul_lo_u32 v9, s4, v2
	v_mul_lo_u32 v8, s2, v4
	s_delay_alu instid0(VALU_DEP_1) | instskip(SKIP_1) | instid1(VALU_DEP_2)
	v_add_nc_u32_e32 v5, v5, v8
	v_mul_lo_u32 v8, s2, v2
	v_add_nc_u32_e32 v5, v5, v9
	s_delay_alu instid0(VALU_DEP_2) | instskip(NEXT) | instid1(VALU_DEP_2)
	v_mul_hi_u32 v9, v2, v8
	v_mul_lo_u32 v10, v2, v5
	v_mul_hi_u32 v11, v2, v5
	v_mul_hi_u32 v12, v4, v8
	v_mul_lo_u32 v8, v4, v8
	v_mul_hi_u32 v13, v4, v5
	v_mul_lo_u32 v5, v4, v5
	v_add_co_u32 v9, vcc_lo, v9, v10
	v_add_co_ci_u32_e32 v10, vcc_lo, 0, v11, vcc_lo
	s_delay_alu instid0(VALU_DEP_2) | instskip(NEXT) | instid1(VALU_DEP_2)
	v_add_co_u32 v8, vcc_lo, v9, v8
	v_add_co_ci_u32_e32 v8, vcc_lo, v10, v12, vcc_lo
	v_add_co_ci_u32_e32 v9, vcc_lo, 0, v13, vcc_lo
	s_delay_alu instid0(VALU_DEP_2) | instskip(NEXT) | instid1(VALU_DEP_2)
	v_add_co_u32 v5, vcc_lo, v8, v5
	v_add_co_ci_u32_e32 v8, vcc_lo, 0, v9, vcc_lo
	s_delay_alu instid0(VALU_DEP_2) | instskip(NEXT) | instid1(VALU_DEP_2)
	v_add_co_u32 v2, vcc_lo, v2, v5
	v_add_co_ci_u32_e32 v12, vcc_lo, v4, v8, vcc_lo
	s_delay_alu instid0(VALU_DEP_2) | instskip(SKIP_1) | instid1(VALU_DEP_3)
	v_mul_hi_u32 v13, v7, v2
	v_mad_u64_u32 v[8:9], null, v3, v2, 0
	v_mad_u64_u32 v[4:5], null, v7, v12, 0
	;; [unrolled: 1-line block ×3, first 2 shown]
	s_delay_alu instid0(VALU_DEP_2) | instskip(NEXT) | instid1(VALU_DEP_3)
	v_add_co_u32 v2, vcc_lo, v13, v4
	v_add_co_ci_u32_e32 v4, vcc_lo, 0, v5, vcc_lo
	s_delay_alu instid0(VALU_DEP_2) | instskip(NEXT) | instid1(VALU_DEP_2)
	v_add_co_u32 v2, vcc_lo, v2, v8
	v_add_co_ci_u32_e32 v2, vcc_lo, v4, v9, vcc_lo
	v_add_co_ci_u32_e32 v4, vcc_lo, 0, v11, vcc_lo
	s_delay_alu instid0(VALU_DEP_2) | instskip(NEXT) | instid1(VALU_DEP_2)
	v_add_co_u32 v10, vcc_lo, v2, v10
	v_add_co_ci_u32_e32 v11, vcc_lo, 0, v4, vcc_lo
	s_delay_alu instid0(VALU_DEP_2) | instskip(NEXT) | instid1(VALU_DEP_1)
	v_mad_u64_u32 v[4:5], null, s10, v10, 0
	v_mov_b32_e32 v2, v5
	s_delay_alu instid0(VALU_DEP_1) | instskip(NEXT) | instid1(VALU_DEP_3)
	v_mad_u64_u32 v[8:9], null, s10, v11, v[2:3]
	v_sub_co_u32 v2, vcc_lo, v7, v4
	s_delay_alu instid0(VALU_DEP_2) | instskip(NEXT) | instid1(VALU_DEP_2)
	v_sub_co_ci_u32_e32 v3, vcc_lo, v3, v8, vcc_lo
	v_sub_co_u32 v4, vcc_lo, v2, s10
	s_delay_alu instid0(VALU_DEP_2) | instskip(NEXT) | instid1(VALU_DEP_2)
	v_subrev_co_ci_u32_e32 v5, vcc_lo, 0, v3, vcc_lo
	v_cmp_le_u32_e32 vcc_lo, s10, v4
	v_cmp_eq_u32_e64 s2, 0, v3
	v_cndmask_b32_e64 v4, 0, -1, vcc_lo
	v_add_co_u32 v7, vcc_lo, v10, 2
	v_add_co_ci_u32_e32 v8, vcc_lo, 0, v11, vcc_lo
	v_cmp_le_u32_e32 vcc_lo, s10, v2
	v_cndmask_b32_e64 v2, 0, -1, vcc_lo
	v_cmp_eq_u32_e32 vcc_lo, 0, v5
	s_delay_alu instid0(VALU_DEP_2) | instskip(SKIP_3) | instid1(VALU_DEP_3)
	v_cndmask_b32_e64 v2, -1, v2, s2
	v_cndmask_b32_e32 v4, -1, v4, vcc_lo
	v_add_co_u32 v5, vcc_lo, v10, 1
	v_add_co_ci_u32_e32 v9, vcc_lo, 0, v11, vcc_lo
	v_cmp_ne_u32_e32 vcc_lo, 0, v4
	s_delay_alu instid0(VALU_DEP_2) | instskip(NEXT) | instid1(VALU_DEP_4)
	v_cndmask_b32_e32 v3, v9, v8, vcc_lo
	v_cndmask_b32_e32 v4, v5, v7, vcc_lo
	v_cmp_ne_u32_e32 vcc_lo, 0, v2
                                        ; implicit-def: $vgpr7
	s_delay_alu instid0(VALU_DEP_2)
	v_dual_cndmask_b32 v5, v11, v3 :: v_dual_cndmask_b32 v4, v10, v4
.LBB85_3:
	s_and_not1_saveexec_b32 s2, s3
	s_cbranch_execz .LBB85_5
; %bb.4:
	v_cvt_f32_u32_e32 v2, s10
	s_sub_i32 s3, 0, s10
	s_delay_alu instid0(VALU_DEP_1) | instskip(SKIP_2) | instid1(VALU_DEP_1)
	v_rcp_iflag_f32_e32 v2, v2
	s_waitcnt_depctr 0xfff
	v_mul_f32_e32 v2, 0x4f7ffffe, v2
	v_cvt_u32_f32_e32 v2, v2
	s_delay_alu instid0(VALU_DEP_1) | instskip(NEXT) | instid1(VALU_DEP_1)
	v_mul_lo_u32 v3, s3, v2
	v_mul_hi_u32 v3, v2, v3
	s_delay_alu instid0(VALU_DEP_1) | instskip(NEXT) | instid1(VALU_DEP_1)
	v_add_nc_u32_e32 v2, v2, v3
	v_mul_hi_u32 v2, v7, v2
	s_delay_alu instid0(VALU_DEP_1) | instskip(SKIP_1) | instid1(VALU_DEP_2)
	v_mul_lo_u32 v3, v2, s10
	v_add_nc_u32_e32 v4, 1, v2
	v_sub_nc_u32_e32 v3, v7, v3
	s_delay_alu instid0(VALU_DEP_1) | instskip(SKIP_1) | instid1(VALU_DEP_2)
	v_subrev_nc_u32_e32 v5, s10, v3
	v_cmp_le_u32_e32 vcc_lo, s10, v3
	v_cndmask_b32_e32 v3, v3, v5, vcc_lo
	v_dual_mov_b32 v5, 0 :: v_dual_cndmask_b32 v2, v2, v4
	s_delay_alu instid0(VALU_DEP_2) | instskip(NEXT) | instid1(VALU_DEP_2)
	v_cmp_le_u32_e32 vcc_lo, s10, v3
	v_add_nc_u32_e32 v4, 1, v2
	s_delay_alu instid0(VALU_DEP_1)
	v_cndmask_b32_e32 v4, v2, v4, vcc_lo
.LBB85_5:
	s_or_b32 exec_lo, exec_lo, s2
	s_load_b128 s[4:7], s[0:1], 0x0
	s_delay_alu instid0(VALU_DEP_1) | instskip(SKIP_2) | instid1(VALU_DEP_3)
	v_add_co_u32 v2, vcc_lo, v4, v6
	v_add_co_ci_u32_e32 v3, vcc_lo, 0, v5, vcc_lo
	v_cmp_ne_u16_e64 s2, s10, 1
	v_add_co_u32 v2, vcc_lo, v2, 1
	s_delay_alu instid0(VALU_DEP_3) | instskip(SKIP_2) | instid1(VALU_DEP_1)
	v_add_co_ci_u32_e32 v3, vcc_lo, 0, v3, vcc_lo
	s_mul_i32 s0, s15, s8
                                        ; kill: def $vgpr4_vgpr5 killed $sgpr0_sgpr1 killed $exec
	s_mov_b32 s1, 0
	v_cmp_gt_u64_e32 vcc_lo, 2, v[2:3]
	v_mov_b32_e32 v5, v3
	s_mov_b32 s11, s1
	s_or_b32 s12, vcc_lo, s2
                                        ; implicit-def: $sgpr2_sgpr3
	s_delay_alu instid0(SALU_CYCLE_1) | instskip(NEXT) | instid1(SALU_CYCLE_1)
	s_and_saveexec_b32 s13, s12
	s_xor_b32 s12, exec_lo, s13
; %bb.6:
	s_mov_b32 s11, exec_lo
	s_lshl_b64 s[2:3], s[0:1], 1
                                        ; implicit-def: $vgpr2_vgpr3
                                        ; implicit-def: $vgpr5
; %bb.7:
	s_or_saveexec_b32 s12, s12
	v_dual_mov_b32 v7, s3 :: v_dual_mov_b32 v6, s2
	s_xor_b32 exec_lo, exec_lo, s12
	s_cbranch_execz .LBB85_11
; %bb.8:
	v_lshlrev_b32_e32 v6, 1, v0
	v_and_b32_e32 v4, -2, v2
	s_lshl_b64 s[2:3], s[0:1], 1
	s_lshl_b32 s13, s10, 2
	s_delay_alu instid0(VALU_DEP_2) | instskip(NEXT) | instid1(VALU_DEP_1)
	v_add_co_u32 v8, s0, v6, s2
	v_add_co_ci_u32_e64 v9, null, 0, s3, s0
	v_dual_mov_b32 v7, v5 :: v_dual_mov_b32 v6, v4
.LBB85_9:                               ; =>This Inner Loop Header: Depth=1
	s_waitcnt lgkmcnt(0)
	s_delay_alu instid0(VALU_DEP_3) | instskip(NEXT) | instid1(VALU_DEP_3)
	v_add_co_u32 v10, vcc_lo, s6, v8
	v_add_co_ci_u32_e32 v11, vcc_lo, s7, v9, vcc_lo
	global_load_b32 v10, v[10:11], off
	s_waitcnt vmcnt(0)
	v_lshlrev_b32_e32 v11, 16, v10
	v_and_b32_e32 v12, 0xffff0000, v10
	s_delay_alu instid0(VALU_DEP_1) | instskip(NEXT) | instid1(VALU_DEP_1)
	v_dual_mul_f32 v10, 0xbfd9db23, v11 :: v_dual_mul_f32 v13, 0xbfd9db23, v12
	v_dual_mul_f32 v14, 0x3fb8aa3b, v10 :: v_dual_mul_f32 v15, 0x3fb8aa3b, v13
	v_cmp_ngt_f32_e32 vcc_lo, 0xc2ce8ed0, v13
	v_cmp_ngt_f32_e64 s0, 0xc2ce8ed0, v10
	s_delay_alu instid0(VALU_DEP_3) | instskip(SKIP_3) | instid1(VALU_DEP_4)
	v_fma_f32 v16, 0x3fb8aa3b, v10, -v14
	v_rndne_f32_e32 v17, v14
	v_fma_f32 v18, 0x3fb8aa3b, v13, -v15
	v_rndne_f32_e32 v19, v15
	v_fmac_f32_e32 v16, 0x32a5705f, v10
	s_delay_alu instid0(VALU_DEP_4) | instskip(NEXT) | instid1(VALU_DEP_3)
	v_sub_f32_e32 v14, v14, v17
	v_dual_fmac_f32 v18, 0x32a5705f, v13 :: v_dual_sub_f32 v15, v15, v19
	s_delay_alu instid0(VALU_DEP_2) | instskip(SKIP_1) | instid1(VALU_DEP_3)
	v_add_f32_e32 v14, v14, v16
	v_cvt_i32_f32_e32 v16, v17
	v_add_f32_e32 v15, v15, v18
	v_cvt_i32_f32_e32 v17, v19
	s_delay_alu instid0(VALU_DEP_4) | instskip(NEXT) | instid1(VALU_DEP_2)
	v_exp_f32_e32 v14, v14
	v_exp_f32_e32 v15, v15
	s_waitcnt_depctr 0xfff
	v_ldexp_f32 v14, v14, v16
	v_ldexp_f32 v15, v15, v17
	s_delay_alu instid0(VALU_DEP_2) | instskip(SKIP_1) | instid1(VALU_DEP_3)
	v_cndmask_b32_e64 v14, 0, v14, s0
	v_cmp_nlt_f32_e64 s0, 0x42b17218, v10
	v_cndmask_b32_e32 v15, 0, v15, vcc_lo
	v_cmp_nlt_f32_e32 vcc_lo, 0x42b17218, v13
	s_delay_alu instid0(VALU_DEP_3) | instskip(NEXT) | instid1(VALU_DEP_1)
	v_cndmask_b32_e64 v10, 0x7f800000, v14, s0
	v_dual_cndmask_b32 v13, 0x7f800000, v15 :: v_dual_add_f32 v14, 1.0, v10
	s_delay_alu instid0(VALU_DEP_1) | instskip(SKIP_1) | instid1(VALU_DEP_2)
	v_div_scale_f32 v10, null, v14, v14, v11
	v_div_scale_f32 v18, vcc_lo, v11, v14, v11
	v_rcp_f32_e32 v16, v10
	s_waitcnt_depctr 0xfff
	v_fma_f32 v20, -v10, v16, 1.0
	s_delay_alu instid0(VALU_DEP_1) | instskip(NEXT) | instid1(VALU_DEP_1)
	v_dual_add_f32 v13, 1.0, v13 :: v_dual_fmac_f32 v16, v20, v16
	v_div_scale_f32 v15, null, v13, v13, v12
	v_div_scale_f32 v19, s0, v12, v13, v12
	s_delay_alu instid0(VALU_DEP_3) | instskip(NEXT) | instid1(VALU_DEP_3)
	v_mul_f32_e32 v20, v18, v16
	v_rcp_f32_e32 v17, v15
	s_delay_alu instid0(VALU_DEP_1) | instskip(NEXT) | instid1(VALU_DEP_1)
	v_fma_f32 v22, -v10, v20, v18
	v_fmac_f32_e32 v20, v22, v16
	s_waitcnt_depctr 0xfff
	v_fma_f32 v21, -v15, v17, 1.0
	v_fma_f32 v10, -v10, v20, v18
	s_delay_alu instid0(VALU_DEP_2) | instskip(NEXT) | instid1(VALU_DEP_2)
	v_fmac_f32_e32 v17, v21, v17
	v_div_fmas_f32 v16, v10, v16, v20
	s_delay_alu instid0(VALU_DEP_2) | instskip(SKIP_1) | instid1(VALU_DEP_2)
	v_mul_f32_e32 v21, v19, v17
	s_mov_b32 vcc_lo, s0
	v_div_fixup_f32 v14, v16, v14, v11
	s_delay_alu instid0(VALU_DEP_2) | instskip(NEXT) | instid1(VALU_DEP_1)
	v_fma_f32 v23, -v15, v21, v19
	v_fmac_f32_e32 v21, v23, v17
	s_delay_alu instid0(VALU_DEP_1) | instskip(NEXT) | instid1(VALU_DEP_1)
	v_fma_f32 v15, -v15, v21, v19
	v_div_fmas_f32 v15, v15, v17, v21
	v_add_co_u32 v10, vcc_lo, s4, v8
	v_add_co_ci_u32_e32 v11, vcc_lo, s5, v9, vcc_lo
	s_delay_alu instid0(VALU_DEP_3) | instskip(SKIP_3) | instid1(VALU_DEP_4)
	v_div_fixup_f32 v12, v15, v13, v12
	v_bfe_u32 v13, v14, 16, 1
	v_add_co_u32 v6, vcc_lo, v6, -2
	v_add_co_ci_u32_e32 v7, vcc_lo, -1, v7, vcc_lo
	v_bfe_u32 v15, v12, 16, 1
	s_delay_alu instid0(VALU_DEP_4) | instskip(SKIP_2) | instid1(VALU_DEP_4)
	v_add3_u32 v13, v14, v13, 0x7fff
	v_cmp_o_f32_e32 vcc_lo, v14, v14
	v_cmp_o_f32_e64 s0, v12, v12
	v_add3_u32 v15, v12, v15, 0x7fff
	s_delay_alu instid0(VALU_DEP_4) | instskip(NEXT) | instid1(VALU_DEP_2)
	v_lshrrev_b32_e32 v13, 16, v13
	v_lshrrev_b32_e32 v15, 16, v15
	s_delay_alu instid0(VALU_DEP_2) | instskip(SKIP_1) | instid1(VALU_DEP_3)
	v_cndmask_b32_e32 v12, 0x7fc0, v13, vcc_lo
	v_cmp_eq_u64_e32 vcc_lo, 0, v[6:7]
	v_cndmask_b32_e64 v13, 0x7fc0, v15, s0
	v_add_co_u32 v8, s0, v8, s13
	s_delay_alu instid0(VALU_DEP_1) | instskip(NEXT) | instid1(VALU_DEP_3)
	v_add_co_ci_u32_e64 v9, s0, 0, v9, s0
	v_perm_b32 v12, v13, v12, 0x5040100
	s_or_b32 s1, vcc_lo, s1
	global_store_b32 v[10:11], v12, off
	s_and_not1_b32 exec_lo, exec_lo, s1
	s_cbranch_execnz .LBB85_9
; %bb.10:
	s_or_b32 exec_lo, exec_lo, s1
	v_mad_u64_u32 v[8:9], null, v4, s10, v[0:1]
	v_cmp_ne_u64_e32 vcc_lo, v[2:3], v[4:5]
	s_and_not1_b32 s0, s11, exec_lo
	s_and_b32 s1, vcc_lo, exec_lo
	s_delay_alu instid0(VALU_DEP_2) | instskip(SKIP_1) | instid1(VALU_DEP_1)
	v_mov_b32_e32 v0, v9
	s_or_b32 s11, s0, s1
	v_mad_u64_u32 v[6:7], null, v5, s10, v[0:1]
	s_delay_alu instid0(VALU_DEP_1) | instskip(SKIP_1) | instid1(VALU_DEP_2)
	v_mov_b32_e32 v9, v6
	v_dual_mov_b32 v7, s3 :: v_dual_mov_b32 v6, s2
	v_dual_mov_b32 v0, v8 :: v_dual_mov_b32 v1, v9
.LBB85_11:
	s_or_b32 exec_lo, exec_lo, s12
	s_delay_alu instid0(SALU_CYCLE_1)
	s_and_b32 exec_lo, exec_lo, s11
	s_cbranch_execz .LBB85_14
; %bb.12:
	s_delay_alu instid0(VALU_DEP_1) | instskip(SKIP_2) | instid1(VALU_DEP_1)
	v_lshlrev_b64 v[2:3], 1, v[0:1]
	s_lshl_b32 s2, s10, 1
	s_mov_b32 s3, 0
	v_add_co_u32 v2, vcc_lo, v2, v6
	s_delay_alu instid0(VALU_DEP_2)
	v_add_co_ci_u32_e32 v3, vcc_lo, v3, v7, vcc_lo
.LBB85_13:                              ; =>This Inner Loop Header: Depth=1
	s_waitcnt lgkmcnt(0)
	s_delay_alu instid0(VALU_DEP_2) | instskip(NEXT) | instid1(VALU_DEP_2)
	v_add_co_u32 v4, vcc_lo, s6, v2
	v_add_co_ci_u32_e32 v5, vcc_lo, s7, v3, vcc_lo
	global_load_u16 v4, v[4:5], off
	s_waitcnt vmcnt(0)
	v_lshlrev_b32_e32 v4, 16, v4
	s_delay_alu instid0(VALU_DEP_1) | instskip(NEXT) | instid1(VALU_DEP_1)
	v_mul_f32_e32 v5, 0xbfd9db23, v4
	v_mul_f32_e32 v6, 0x3fb8aa3b, v5
	s_delay_alu instid0(VALU_DEP_1) | instskip(SKIP_1) | instid1(VALU_DEP_1)
	v_fma_f32 v7, 0x3fb8aa3b, v5, -v6
	v_rndne_f32_e32 v8, v6
	v_dual_fmac_f32 v7, 0x32a5705f, v5 :: v_dual_sub_f32 v6, v6, v8
	s_delay_alu instid0(VALU_DEP_1) | instskip(SKIP_2) | instid1(VALU_DEP_3)
	v_add_f32_e32 v6, v6, v7
	v_cvt_i32_f32_e32 v7, v8
	v_cmp_ngt_f32_e32 vcc_lo, 0xc2ce8ed0, v5
	v_exp_f32_e32 v6, v6
	s_waitcnt_depctr 0xfff
	v_ldexp_f32 v6, v6, v7
	s_delay_alu instid0(VALU_DEP_1) | instskip(SKIP_1) | instid1(VALU_DEP_2)
	v_cndmask_b32_e32 v6, 0, v6, vcc_lo
	v_cmp_nlt_f32_e32 vcc_lo, 0x42b17218, v5
	v_cndmask_b32_e32 v5, 0x7f800000, v6, vcc_lo
	s_delay_alu instid0(VALU_DEP_1) | instskip(NEXT) | instid1(VALU_DEP_1)
	v_add_f32_e32 v5, 1.0, v5
	v_div_scale_f32 v6, null, v5, v5, v4
	v_div_scale_f32 v9, vcc_lo, v4, v5, v4
	s_delay_alu instid0(VALU_DEP_2) | instskip(SKIP_2) | instid1(VALU_DEP_1)
	v_rcp_f32_e32 v7, v6
	s_waitcnt_depctr 0xfff
	v_fma_f32 v8, -v6, v7, 1.0
	v_fmac_f32_e32 v7, v8, v7
	s_delay_alu instid0(VALU_DEP_1) | instskip(NEXT) | instid1(VALU_DEP_1)
	v_mul_f32_e32 v8, v9, v7
	v_fma_f32 v10, -v6, v8, v9
	s_delay_alu instid0(VALU_DEP_1) | instskip(NEXT) | instid1(VALU_DEP_1)
	v_fmac_f32_e32 v8, v10, v7
	v_fma_f32 v6, -v6, v8, v9
	s_delay_alu instid0(VALU_DEP_1) | instskip(SKIP_2) | instid1(VALU_DEP_3)
	v_div_fmas_f32 v6, v6, v7, v8
	v_add_co_u32 v0, vcc_lo, v0, s10
	v_add_co_ci_u32_e32 v1, vcc_lo, 0, v1, vcc_lo
	v_div_fixup_f32 v6, v6, v5, v4
	s_delay_alu instid0(VALU_DEP_2) | instskip(NEXT) | instid1(VALU_DEP_2)
	v_cmp_le_i64_e64 s0, s[8:9], v[0:1]
	v_bfe_u32 v4, v6, 16, 1
	v_cmp_o_f32_e64 s1, v6, v6
	s_delay_alu instid0(VALU_DEP_3) | instskip(NEXT) | instid1(VALU_DEP_2)
	s_or_b32 s3, s0, s3
	v_add3_u32 v7, v6, v4, 0x7fff
	v_add_co_u32 v4, vcc_lo, s4, v2
	v_add_co_ci_u32_e32 v5, vcc_lo, s5, v3, vcc_lo
	s_delay_alu instid0(VALU_DEP_3) | instskip(SKIP_2) | instid1(VALU_DEP_3)
	v_lshrrev_b32_e32 v7, 16, v7
	v_add_co_u32 v2, vcc_lo, v2, s2
	v_add_co_ci_u32_e32 v3, vcc_lo, 0, v3, vcc_lo
	v_cndmask_b32_e64 v6, 0x7fc0, v7, s1
	global_store_b16 v[4:5], v6, off
	s_and_not1_b32 exec_lo, exec_lo, s3
	s_cbranch_execnz .LBB85_13
.LBB85_14:
	s_nop 0
	s_sendmsg sendmsg(MSG_DEALLOC_VGPRS)
	s_endpgm
	.section	.rodata,"a",@progbits
	.p2align	6, 0x0
	.amdhsa_kernel _ZN4vllm17activation_kernelIN3c108BFloat16ETnPFT_RKS3_EXadL_ZNS_17gelu_quick_kernelIS2_EES3_S5_EELb0ELb0EEEvPS3_PS4_i
		.amdhsa_group_segment_fixed_size 0
		.amdhsa_private_segment_fixed_size 0
		.amdhsa_kernarg_size 280
		.amdhsa_user_sgpr_count 15
		.amdhsa_user_sgpr_dispatch_ptr 0
		.amdhsa_user_sgpr_queue_ptr 0
		.amdhsa_user_sgpr_kernarg_segment_ptr 1
		.amdhsa_user_sgpr_dispatch_id 0
		.amdhsa_user_sgpr_private_segment_size 0
		.amdhsa_wavefront_size32 1
		.amdhsa_uses_dynamic_stack 0
		.amdhsa_enable_private_segment 0
		.amdhsa_system_sgpr_workgroup_id_x 1
		.amdhsa_system_sgpr_workgroup_id_y 0
		.amdhsa_system_sgpr_workgroup_id_z 0
		.amdhsa_system_sgpr_workgroup_info 0
		.amdhsa_system_vgpr_workitem_id 0
		.amdhsa_next_free_vgpr 24
		.amdhsa_next_free_sgpr 16
		.amdhsa_reserve_vcc 1
		.amdhsa_float_round_mode_32 0
		.amdhsa_float_round_mode_16_64 0
		.amdhsa_float_denorm_mode_32 3
		.amdhsa_float_denorm_mode_16_64 3
		.amdhsa_dx10_clamp 1
		.amdhsa_ieee_mode 1
		.amdhsa_fp16_overflow 0
		.amdhsa_workgroup_processor_mode 1
		.amdhsa_memory_ordered 1
		.amdhsa_forward_progress 0
		.amdhsa_shared_vgpr_count 0
		.amdhsa_exception_fp_ieee_invalid_op 0
		.amdhsa_exception_fp_denorm_src 0
		.amdhsa_exception_fp_ieee_div_zero 0
		.amdhsa_exception_fp_ieee_overflow 0
		.amdhsa_exception_fp_ieee_underflow 0
		.amdhsa_exception_fp_ieee_inexact 0
		.amdhsa_exception_int_div_zero 0
	.end_amdhsa_kernel
	.section	.text._ZN4vllm17activation_kernelIN3c108BFloat16ETnPFT_RKS3_EXadL_ZNS_17gelu_quick_kernelIS2_EES3_S5_EELb0ELb0EEEvPS3_PS4_i,"axG",@progbits,_ZN4vllm17activation_kernelIN3c108BFloat16ETnPFT_RKS3_EXadL_ZNS_17gelu_quick_kernelIS2_EES3_S5_EELb0ELb0EEEvPS3_PS4_i,comdat
.Lfunc_end85:
	.size	_ZN4vllm17activation_kernelIN3c108BFloat16ETnPFT_RKS3_EXadL_ZNS_17gelu_quick_kernelIS2_EES3_S5_EELb0ELb0EEEvPS3_PS4_i, .Lfunc_end85-_ZN4vllm17activation_kernelIN3c108BFloat16ETnPFT_RKS3_EXadL_ZNS_17gelu_quick_kernelIS2_EES3_S5_EELb0ELb0EEEvPS3_PS4_i
                                        ; -- End function
	.section	.AMDGPU.csdata,"",@progbits
; Kernel info:
; codeLenInByte = 2280
; NumSgprs: 18
; NumVgprs: 24
; ScratchSize: 0
; MemoryBound: 0
; FloatMode: 240
; IeeeMode: 1
; LDSByteSize: 0 bytes/workgroup (compile time only)
; SGPRBlocks: 2
; VGPRBlocks: 2
; NumSGPRsForWavesPerEU: 18
; NumVGPRsForWavesPerEU: 24
; Occupancy: 16
; WaveLimiterHint : 0
; COMPUTE_PGM_RSRC2:SCRATCH_EN: 0
; COMPUTE_PGM_RSRC2:USER_SGPR: 15
; COMPUTE_PGM_RSRC2:TRAP_HANDLER: 0
; COMPUTE_PGM_RSRC2:TGID_X_EN: 1
; COMPUTE_PGM_RSRC2:TGID_Y_EN: 0
; COMPUTE_PGM_RSRC2:TGID_Z_EN: 0
; COMPUTE_PGM_RSRC2:TIDIG_COMP_CNT: 0
	.text
	.p2alignl 7, 3214868480
	.fill 96, 4, 3214868480
	.type	__const.__assert_fail.fmt,@object ; @__const.__assert_fail.fmt
	.section	.rodata.str1.16,"aMS",@progbits,1
	.p2align	4, 0x0
__const.__assert_fail.fmt:
	.asciz	"%s:%u: %s: Device-side assertion `%s' failed.\n"
	.size	__const.__assert_fail.fmt, 47

	.type	.str,@object                    ; @.str
	.section	.rodata.str1.1,"aMS",@progbits,1
.str:
	.asciz	"false && \"ld256 requires SM100+ with CUDA 12.9+\""
	.size	.str, 49

	.type	.str.1,@object                  ; @.str.1
.str.1:
	.asciz	"/root/src/amdgpu-assembly/repos/vllm-project__vllm/csrc/libtorch_stable/hip_vec_utils.cuh"
	.size	.str.1, 90

	.type	__PRETTY_FUNCTION__._ZN4vllm5ld256ERNS_7u32x8_tEPKS0_,@object ; @__PRETTY_FUNCTION__._ZN4vllm5ld256ERNS_7u32x8_tEPKS0_
__PRETTY_FUNCTION__._ZN4vllm5ld256ERNS_7u32x8_tEPKS0_:
	.asciz	"void vllm::ld256(u32x8_t &, const u32x8_t *)"
	.size	__PRETTY_FUNCTION__._ZN4vllm5ld256ERNS_7u32x8_tEPKS0_, 45

	.type	__hip_cuid_377ef3c6033680b9,@object ; @__hip_cuid_377ef3c6033680b9
	.section	.bss,"aw",@nobits
	.globl	__hip_cuid_377ef3c6033680b9
__hip_cuid_377ef3c6033680b9:
	.byte	0                               ; 0x0
	.size	__hip_cuid_377ef3c6033680b9, 1

	.ident	"AMD clang version 19.0.0git (https://github.com/RadeonOpenCompute/llvm-project roc-6.4.0 25133 c7fe45cf4b819c5991fe208aaa96edf142730f1d)"
	.section	".note.GNU-stack","",@progbits
	.addrsig
	.addrsig_sym __hip_cuid_377ef3c6033680b9
	.amdgpu_metadata
---
amdhsa.kernels:
  - .args:
      - .actual_access:  read_only
        .address_space:  global
        .offset:         0
        .size:           8
        .value_kind:     global_buffer
      - .actual_access:  read_only
        .address_space:  global
        .offset:         8
        .size:           8
        .value_kind:     global_buffer
      - .offset:         16
        .size:           4
        .value_kind:     by_value
      - .offset:         20
        .size:           4
        .value_kind:     by_value
      - .offset:         24
        .size:           4
        .value_kind:     hidden_block_count_x
      - .offset:         28
        .size:           4
        .value_kind:     hidden_block_count_y
      - .offset:         32
        .size:           4
        .value_kind:     hidden_block_count_z
      - .offset:         36
        .size:           2
        .value_kind:     hidden_group_size_x
      - .offset:         38
        .size:           2
        .value_kind:     hidden_group_size_y
      - .offset:         40
        .size:           2
        .value_kind:     hidden_group_size_z
      - .offset:         42
        .size:           2
        .value_kind:     hidden_remainder_x
      - .offset:         44
        .size:           2
        .value_kind:     hidden_remainder_y
      - .offset:         46
        .size:           2
        .value_kind:     hidden_remainder_z
      - .offset:         64
        .size:           8
        .value_kind:     hidden_global_offset_x
      - .offset:         72
        .size:           8
        .value_kind:     hidden_global_offset_y
      - .offset:         80
        .size:           8
        .value_kind:     hidden_global_offset_z
      - .offset:         88
        .size:           2
        .value_kind:     hidden_grid_dims
      - .offset:         104
        .size:           8
        .value_kind:     hidden_hostcall_buffer
    .group_segment_fixed_size: 0
    .kernarg_segment_align: 8
    .kernarg_segment_size: 280
    .language:       OpenCL C
    .language_version:
      - 2
      - 0
    .max_flat_workgroup_size: 1024
    .name:           _ZN4vllm18act_and_mul_kernelIf15HIP_vector_typeIfLj2EETnPFT_RKS3_EXadL_ZNS_11silu_kernelIfEES3_S5_EETnPFT0_RKS9_EXadL_ZNS_18packed_silu_kernelIS2_EES3_S5_EELb1ELb1ELb0ELb1EEEvPS3_PS4_if
    .private_segment_fixed_size: 64
    .sgpr_count:     36
    .sgpr_spill_count: 0
    .symbol:         _ZN4vllm18act_and_mul_kernelIf15HIP_vector_typeIfLj2EETnPFT_RKS3_EXadL_ZNS_11silu_kernelIfEES3_S5_EETnPFT0_RKS9_EXadL_ZNS_18packed_silu_kernelIS2_EES3_S5_EELb1ELb1ELb0ELb1EEEvPS3_PS4_if.kd
    .uniform_work_group_size: 1
    .uses_dynamic_stack: false
    .vgpr_count:     51
    .vgpr_spill_count: 0
    .wavefront_size: 32
    .workgroup_processor_mode: 1
  - .args:
      - .actual_access:  read_only
        .address_space:  global
        .offset:         0
        .size:           8
        .value_kind:     global_buffer
      - .actual_access:  read_only
        .address_space:  global
        .offset:         8
        .size:           8
        .value_kind:     global_buffer
      - .offset:         16
        .size:           4
        .value_kind:     by_value
      - .offset:         20
        .size:           4
        .value_kind:     by_value
      - .offset:         24
        .size:           4
        .value_kind:     hidden_block_count_x
      - .offset:         28
        .size:           4
        .value_kind:     hidden_block_count_y
      - .offset:         32
        .size:           4
        .value_kind:     hidden_block_count_z
      - .offset:         36
        .size:           2
        .value_kind:     hidden_group_size_x
      - .offset:         38
        .size:           2
        .value_kind:     hidden_group_size_y
      - .offset:         40
        .size:           2
        .value_kind:     hidden_group_size_z
      - .offset:         42
        .size:           2
        .value_kind:     hidden_remainder_x
      - .offset:         44
        .size:           2
        .value_kind:     hidden_remainder_y
      - .offset:         46
        .size:           2
        .value_kind:     hidden_remainder_z
      - .offset:         64
        .size:           8
        .value_kind:     hidden_global_offset_x
      - .offset:         72
        .size:           8
        .value_kind:     hidden_global_offset_y
      - .offset:         80
        .size:           8
        .value_kind:     hidden_global_offset_z
      - .offset:         88
        .size:           2
        .value_kind:     hidden_grid_dims
      - .offset:         104
        .size:           8
        .value_kind:     hidden_hostcall_buffer
    .group_segment_fixed_size: 0
    .kernarg_segment_align: 8
    .kernarg_segment_size: 280
    .language:       OpenCL C
    .language_version:
      - 2
      - 0
    .max_flat_workgroup_size: 1024
    .name:           _ZN4vllm18act_and_mul_kernelIN3c104HalfE7__half2TnPFT_RKS4_EXadL_ZNS_11silu_kernelIS2_EES4_S6_EETnPFT0_RKSA_EXadL_ZNS_18packed_silu_kernelIS3_EES4_S6_EELb1ELb1ELb0ELb1EEEvPS4_PS5_if
    .private_segment_fixed_size: 64
    .sgpr_count:     36
    .sgpr_spill_count: 0
    .symbol:         _ZN4vllm18act_and_mul_kernelIN3c104HalfE7__half2TnPFT_RKS4_EXadL_ZNS_11silu_kernelIS2_EES4_S6_EETnPFT0_RKSA_EXadL_ZNS_18packed_silu_kernelIS3_EES4_S6_EELb1ELb1ELb0ELb1EEEvPS4_PS5_if.kd
    .uniform_work_group_size: 1
    .uses_dynamic_stack: false
    .vgpr_count:     51
    .vgpr_spill_count: 0
    .wavefront_size: 32
    .workgroup_processor_mode: 1
  - .args:
      - .actual_access:  read_only
        .address_space:  global
        .offset:         0
        .size:           8
        .value_kind:     global_buffer
      - .actual_access:  read_only
        .address_space:  global
        .offset:         8
        .size:           8
        .value_kind:     global_buffer
      - .offset:         16
        .size:           4
        .value_kind:     by_value
      - .offset:         20
        .size:           4
        .value_kind:     by_value
      - .offset:         24
        .size:           4
        .value_kind:     hidden_block_count_x
      - .offset:         28
        .size:           4
        .value_kind:     hidden_block_count_y
      - .offset:         32
        .size:           4
        .value_kind:     hidden_block_count_z
      - .offset:         36
        .size:           2
        .value_kind:     hidden_group_size_x
      - .offset:         38
        .size:           2
        .value_kind:     hidden_group_size_y
      - .offset:         40
        .size:           2
        .value_kind:     hidden_group_size_z
      - .offset:         42
        .size:           2
        .value_kind:     hidden_remainder_x
      - .offset:         44
        .size:           2
        .value_kind:     hidden_remainder_y
      - .offset:         46
        .size:           2
        .value_kind:     hidden_remainder_z
      - .offset:         64
        .size:           8
        .value_kind:     hidden_global_offset_x
      - .offset:         72
        .size:           8
        .value_kind:     hidden_global_offset_y
      - .offset:         80
        .size:           8
        .value_kind:     hidden_global_offset_z
      - .offset:         88
        .size:           2
        .value_kind:     hidden_grid_dims
      - .offset:         104
        .size:           8
        .value_kind:     hidden_hostcall_buffer
    .group_segment_fixed_size: 0
    .kernarg_segment_align: 8
    .kernarg_segment_size: 280
    .language:       OpenCL C
    .language_version:
      - 2
      - 0
    .max_flat_workgroup_size: 1024
    .name:           _ZN4vllm18act_and_mul_kernelIN3c108BFloat16E15__hip_bfloat162TnPFT_RKS4_EXadL_ZNS_11silu_kernelIS2_EES4_S6_EETnPFT0_RKSA_EXadL_ZNS_18packed_silu_kernelIS3_EES4_S6_EELb1ELb1ELb0ELb1EEEvPS4_PS5_if
    .private_segment_fixed_size: 64
    .sgpr_count:     36
    .sgpr_spill_count: 0
    .symbol:         _ZN4vllm18act_and_mul_kernelIN3c108BFloat16E15__hip_bfloat162TnPFT_RKS4_EXadL_ZNS_11silu_kernelIS2_EES4_S6_EETnPFT0_RKSA_EXadL_ZNS_18packed_silu_kernelIS3_EES4_S6_EELb1ELb1ELb0ELb1EEEvPS4_PS5_if.kd
    .uniform_work_group_size: 1
    .uses_dynamic_stack: false
    .vgpr_count:     51
    .vgpr_spill_count: 0
    .wavefront_size: 32
    .workgroup_processor_mode: 1
  - .args:
      - .actual_access:  write_only
        .address_space:  global
        .offset:         0
        .size:           8
        .value_kind:     global_buffer
      - .actual_access:  read_only
        .address_space:  global
        .offset:         8
        .size:           8
        .value_kind:     global_buffer
      - .offset:         16
        .size:           4
        .value_kind:     by_value
      - .offset:         20
        .size:           4
        .value_kind:     by_value
      - .offset:         24
        .size:           4
        .value_kind:     hidden_block_count_x
      - .offset:         28
        .size:           4
        .value_kind:     hidden_block_count_y
      - .offset:         32
        .size:           4
        .value_kind:     hidden_block_count_z
      - .offset:         36
        .size:           2
        .value_kind:     hidden_group_size_x
      - .offset:         38
        .size:           2
        .value_kind:     hidden_group_size_y
      - .offset:         40
        .size:           2
        .value_kind:     hidden_group_size_z
      - .offset:         42
        .size:           2
        .value_kind:     hidden_remainder_x
      - .offset:         44
        .size:           2
        .value_kind:     hidden_remainder_y
      - .offset:         46
        .size:           2
        .value_kind:     hidden_remainder_z
      - .offset:         64
        .size:           8
        .value_kind:     hidden_global_offset_x
      - .offset:         72
        .size:           8
        .value_kind:     hidden_global_offset_y
      - .offset:         80
        .size:           8
        .value_kind:     hidden_global_offset_z
      - .offset:         88
        .size:           2
        .value_kind:     hidden_grid_dims
    .group_segment_fixed_size: 0
    .kernarg_segment_align: 8
    .kernarg_segment_size: 280
    .language:       OpenCL C
    .language_version:
      - 2
      - 0
    .max_flat_workgroup_size: 1024
    .name:           _ZN4vllm18act_and_mul_kernelIf15HIP_vector_typeIfLj2EETnPFT_RKS3_EXadL_ZNS_11silu_kernelIfEES3_S5_EETnPFT0_RKS9_EXadL_ZNS_18packed_silu_kernelIS2_EES3_S5_EELb1ELb1ELb0ELb0EEEvPS3_PS4_if
    .private_segment_fixed_size: 0
    .sgpr_count:     22
    .sgpr_spill_count: 0
    .symbol:         _ZN4vllm18act_and_mul_kernelIf15HIP_vector_typeIfLj2EETnPFT_RKS3_EXadL_ZNS_11silu_kernelIfEES3_S5_EETnPFT0_RKS9_EXadL_ZNS_18packed_silu_kernelIS2_EES3_S5_EELb1ELb1ELb0ELb0EEEvPS3_PS4_if.kd
    .uniform_work_group_size: 1
    .uses_dynamic_stack: false
    .vgpr_count:     41
    .vgpr_spill_count: 0
    .wavefront_size: 32
    .workgroup_processor_mode: 1
  - .args:
      - .actual_access:  write_only
        .address_space:  global
        .offset:         0
        .size:           8
        .value_kind:     global_buffer
      - .actual_access:  read_only
        .address_space:  global
        .offset:         8
        .size:           8
        .value_kind:     global_buffer
      - .offset:         16
        .size:           4
        .value_kind:     by_value
      - .offset:         20
        .size:           4
        .value_kind:     by_value
      - .offset:         24
        .size:           4
        .value_kind:     hidden_block_count_x
      - .offset:         28
        .size:           4
        .value_kind:     hidden_block_count_y
      - .offset:         32
        .size:           4
        .value_kind:     hidden_block_count_z
      - .offset:         36
        .size:           2
        .value_kind:     hidden_group_size_x
      - .offset:         38
        .size:           2
        .value_kind:     hidden_group_size_y
      - .offset:         40
        .size:           2
        .value_kind:     hidden_group_size_z
      - .offset:         42
        .size:           2
        .value_kind:     hidden_remainder_x
      - .offset:         44
        .size:           2
        .value_kind:     hidden_remainder_y
      - .offset:         46
        .size:           2
        .value_kind:     hidden_remainder_z
      - .offset:         64
        .size:           8
        .value_kind:     hidden_global_offset_x
      - .offset:         72
        .size:           8
        .value_kind:     hidden_global_offset_y
      - .offset:         80
        .size:           8
        .value_kind:     hidden_global_offset_z
      - .offset:         88
        .size:           2
        .value_kind:     hidden_grid_dims
    .group_segment_fixed_size: 0
    .kernarg_segment_align: 8
    .kernarg_segment_size: 280
    .language:       OpenCL C
    .language_version:
      - 2
      - 0
    .max_flat_workgroup_size: 1024
    .name:           _ZN4vllm18act_and_mul_kernelIN3c104HalfE7__half2TnPFT_RKS4_EXadL_ZNS_11silu_kernelIS2_EES4_S6_EETnPFT0_RKSA_EXadL_ZNS_18packed_silu_kernelIS3_EES4_S6_EELb1ELb1ELb0ELb0EEEvPS4_PS5_if
    .private_segment_fixed_size: 0
    .sgpr_count:     22
    .sgpr_spill_count: 0
    .symbol:         _ZN4vllm18act_and_mul_kernelIN3c104HalfE7__half2TnPFT_RKS4_EXadL_ZNS_11silu_kernelIS2_EES4_S6_EETnPFT0_RKSA_EXadL_ZNS_18packed_silu_kernelIS3_EES4_S6_EELb1ELb1ELb0ELb0EEEvPS4_PS5_if.kd
    .uniform_work_group_size: 1
    .uses_dynamic_stack: false
    .vgpr_count:     66
    .vgpr_spill_count: 0
    .wavefront_size: 32
    .workgroup_processor_mode: 1
  - .args:
      - .actual_access:  write_only
        .address_space:  global
        .offset:         0
        .size:           8
        .value_kind:     global_buffer
      - .actual_access:  read_only
        .address_space:  global
        .offset:         8
        .size:           8
        .value_kind:     global_buffer
      - .offset:         16
        .size:           4
        .value_kind:     by_value
      - .offset:         20
        .size:           4
        .value_kind:     by_value
      - .offset:         24
        .size:           4
        .value_kind:     hidden_block_count_x
      - .offset:         28
        .size:           4
        .value_kind:     hidden_block_count_y
      - .offset:         32
        .size:           4
        .value_kind:     hidden_block_count_z
      - .offset:         36
        .size:           2
        .value_kind:     hidden_group_size_x
      - .offset:         38
        .size:           2
        .value_kind:     hidden_group_size_y
      - .offset:         40
        .size:           2
        .value_kind:     hidden_group_size_z
      - .offset:         42
        .size:           2
        .value_kind:     hidden_remainder_x
      - .offset:         44
        .size:           2
        .value_kind:     hidden_remainder_y
      - .offset:         46
        .size:           2
        .value_kind:     hidden_remainder_z
      - .offset:         64
        .size:           8
        .value_kind:     hidden_global_offset_x
      - .offset:         72
        .size:           8
        .value_kind:     hidden_global_offset_y
      - .offset:         80
        .size:           8
        .value_kind:     hidden_global_offset_z
      - .offset:         88
        .size:           2
        .value_kind:     hidden_grid_dims
    .group_segment_fixed_size: 0
    .kernarg_segment_align: 8
    .kernarg_segment_size: 280
    .language:       OpenCL C
    .language_version:
      - 2
      - 0
    .max_flat_workgroup_size: 1024
    .name:           _ZN4vllm18act_and_mul_kernelIN3c108BFloat16E15__hip_bfloat162TnPFT_RKS4_EXadL_ZNS_11silu_kernelIS2_EES4_S6_EETnPFT0_RKSA_EXadL_ZNS_18packed_silu_kernelIS3_EES4_S6_EELb1ELb1ELb0ELb0EEEvPS4_PS5_if
    .private_segment_fixed_size: 0
    .sgpr_count:     18
    .sgpr_spill_count: 0
    .symbol:         _ZN4vllm18act_and_mul_kernelIN3c108BFloat16E15__hip_bfloat162TnPFT_RKS4_EXadL_ZNS_11silu_kernelIS2_EES4_S6_EETnPFT0_RKSA_EXadL_ZNS_18packed_silu_kernelIS3_EES4_S6_EELb1ELb1ELb0ELb0EEEvPS4_PS5_if.kd
    .uniform_work_group_size: 1
    .uses_dynamic_stack: false
    .vgpr_count:     22
    .vgpr_spill_count: 0
    .wavefront_size: 32
    .workgroup_processor_mode: 1
  - .args:
      - .actual_access:  write_only
        .address_space:  global
        .offset:         0
        .size:           8
        .value_kind:     global_buffer
      - .actual_access:  read_only
        .address_space:  global
        .offset:         8
        .size:           8
        .value_kind:     global_buffer
      - .offset:         16
        .size:           4
        .value_kind:     by_value
      - .offset:         20
        .size:           4
        .value_kind:     by_value
      - .offset:         24
        .size:           4
        .value_kind:     hidden_block_count_x
      - .offset:         28
        .size:           4
        .value_kind:     hidden_block_count_y
      - .offset:         32
        .size:           4
        .value_kind:     hidden_block_count_z
      - .offset:         36
        .size:           2
        .value_kind:     hidden_group_size_x
      - .offset:         38
        .size:           2
        .value_kind:     hidden_group_size_y
      - .offset:         40
        .size:           2
        .value_kind:     hidden_group_size_z
      - .offset:         42
        .size:           2
        .value_kind:     hidden_remainder_x
      - .offset:         44
        .size:           2
        .value_kind:     hidden_remainder_y
      - .offset:         46
        .size:           2
        .value_kind:     hidden_remainder_z
      - .offset:         64
        .size:           8
        .value_kind:     hidden_global_offset_x
      - .offset:         72
        .size:           8
        .value_kind:     hidden_global_offset_y
      - .offset:         80
        .size:           8
        .value_kind:     hidden_global_offset_z
      - .offset:         88
        .size:           2
        .value_kind:     hidden_grid_dims
    .group_segment_fixed_size: 0
    .kernarg_segment_align: 8
    .kernarg_segment_size: 280
    .language:       OpenCL C
    .language_version:
      - 2
      - 0
    .max_flat_workgroup_size: 1024
    .name:           _ZN4vllm18act_and_mul_kernelIf15HIP_vector_typeIfLj2EETnPFT_RKS3_EXadL_ZNS_11silu_kernelIfEES3_S5_EETnPFT0_RKS9_EXadL_ZNS_18packed_silu_kernelIS2_EES3_S5_EELb1ELb0ELb0ELb0EEEvPS3_PS4_if
    .private_segment_fixed_size: 0
    .sgpr_count:     18
    .sgpr_spill_count: 0
    .symbol:         _ZN4vllm18act_and_mul_kernelIf15HIP_vector_typeIfLj2EETnPFT_RKS3_EXadL_ZNS_11silu_kernelIfEES3_S5_EETnPFT0_RKS9_EXadL_ZNS_18packed_silu_kernelIS2_EES3_S5_EELb1ELb0ELb0ELb0EEEvPS3_PS4_if.kd
    .uniform_work_group_size: 1
    .uses_dynamic_stack: false
    .vgpr_count:     12
    .vgpr_spill_count: 0
    .wavefront_size: 32
    .workgroup_processor_mode: 1
  - .args:
      - .actual_access:  write_only
        .address_space:  global
        .offset:         0
        .size:           8
        .value_kind:     global_buffer
      - .actual_access:  read_only
        .address_space:  global
        .offset:         8
        .size:           8
        .value_kind:     global_buffer
      - .offset:         16
        .size:           4
        .value_kind:     by_value
      - .offset:         20
        .size:           4
        .value_kind:     by_value
      - .offset:         24
        .size:           4
        .value_kind:     hidden_block_count_x
      - .offset:         28
        .size:           4
        .value_kind:     hidden_block_count_y
      - .offset:         32
        .size:           4
        .value_kind:     hidden_block_count_z
      - .offset:         36
        .size:           2
        .value_kind:     hidden_group_size_x
      - .offset:         38
        .size:           2
        .value_kind:     hidden_group_size_y
      - .offset:         40
        .size:           2
        .value_kind:     hidden_group_size_z
      - .offset:         42
        .size:           2
        .value_kind:     hidden_remainder_x
      - .offset:         44
        .size:           2
        .value_kind:     hidden_remainder_y
      - .offset:         46
        .size:           2
        .value_kind:     hidden_remainder_z
      - .offset:         64
        .size:           8
        .value_kind:     hidden_global_offset_x
      - .offset:         72
        .size:           8
        .value_kind:     hidden_global_offset_y
      - .offset:         80
        .size:           8
        .value_kind:     hidden_global_offset_z
      - .offset:         88
        .size:           2
        .value_kind:     hidden_grid_dims
    .group_segment_fixed_size: 0
    .kernarg_segment_align: 8
    .kernarg_segment_size: 280
    .language:       OpenCL C
    .language_version:
      - 2
      - 0
    .max_flat_workgroup_size: 1024
    .name:           _ZN4vllm18act_and_mul_kernelIN3c104HalfE7__half2TnPFT_RKS4_EXadL_ZNS_11silu_kernelIS2_EES4_S6_EETnPFT0_RKSA_EXadL_ZNS_18packed_silu_kernelIS3_EES4_S6_EELb1ELb0ELb0ELb0EEEvPS4_PS5_if
    .private_segment_fixed_size: 0
    .sgpr_count:     21
    .sgpr_spill_count: 0
    .symbol:         _ZN4vllm18act_and_mul_kernelIN3c104HalfE7__half2TnPFT_RKS4_EXadL_ZNS_11silu_kernelIS2_EES4_S6_EETnPFT0_RKSA_EXadL_ZNS_18packed_silu_kernelIS3_EES4_S6_EELb1ELb0ELb0ELb0EEEvPS4_PS5_if.kd
    .uniform_work_group_size: 1
    .uses_dynamic_stack: false
    .vgpr_count:     29
    .vgpr_spill_count: 0
    .wavefront_size: 32
    .workgroup_processor_mode: 1
  - .args:
      - .actual_access:  write_only
        .address_space:  global
        .offset:         0
        .size:           8
        .value_kind:     global_buffer
      - .actual_access:  read_only
        .address_space:  global
        .offset:         8
        .size:           8
        .value_kind:     global_buffer
      - .offset:         16
        .size:           4
        .value_kind:     by_value
      - .offset:         20
        .size:           4
        .value_kind:     by_value
      - .offset:         24
        .size:           4
        .value_kind:     hidden_block_count_x
      - .offset:         28
        .size:           4
        .value_kind:     hidden_block_count_y
      - .offset:         32
        .size:           4
        .value_kind:     hidden_block_count_z
      - .offset:         36
        .size:           2
        .value_kind:     hidden_group_size_x
      - .offset:         38
        .size:           2
        .value_kind:     hidden_group_size_y
      - .offset:         40
        .size:           2
        .value_kind:     hidden_group_size_z
      - .offset:         42
        .size:           2
        .value_kind:     hidden_remainder_x
      - .offset:         44
        .size:           2
        .value_kind:     hidden_remainder_y
      - .offset:         46
        .size:           2
        .value_kind:     hidden_remainder_z
      - .offset:         64
        .size:           8
        .value_kind:     hidden_global_offset_x
      - .offset:         72
        .size:           8
        .value_kind:     hidden_global_offset_y
      - .offset:         80
        .size:           8
        .value_kind:     hidden_global_offset_z
      - .offset:         88
        .size:           2
        .value_kind:     hidden_grid_dims
    .group_segment_fixed_size: 0
    .kernarg_segment_align: 8
    .kernarg_segment_size: 280
    .language:       OpenCL C
    .language_version:
      - 2
      - 0
    .max_flat_workgroup_size: 1024
    .name:           _ZN4vllm18act_and_mul_kernelIN3c108BFloat16E15__hip_bfloat162TnPFT_RKS4_EXadL_ZNS_11silu_kernelIS2_EES4_S6_EETnPFT0_RKSA_EXadL_ZNS_18packed_silu_kernelIS3_EES4_S6_EELb1ELb0ELb0ELb0EEEvPS4_PS5_if
    .private_segment_fixed_size: 0
    .sgpr_count:     20
    .sgpr_spill_count: 0
    .symbol:         _ZN4vllm18act_and_mul_kernelIN3c108BFloat16E15__hip_bfloat162TnPFT_RKS4_EXadL_ZNS_11silu_kernelIS2_EES4_S6_EETnPFT0_RKSA_EXadL_ZNS_18packed_silu_kernelIS3_EES4_S6_EELb1ELb0ELb0ELb0EEEvPS4_PS5_if.kd
    .uniform_work_group_size: 1
    .uses_dynamic_stack: false
    .vgpr_count:     29
    .vgpr_spill_count: 0
    .wavefront_size: 32
    .workgroup_processor_mode: 1
  - .args:
      - .actual_access:  read_only
        .address_space:  global
        .offset:         0
        .size:           8
        .value_kind:     global_buffer
      - .actual_access:  read_only
        .address_space:  global
        .offset:         8
        .size:           8
        .value_kind:     global_buffer
      - .offset:         16
        .size:           4
        .value_kind:     by_value
      - .offset:         20
        .size:           4
        .value_kind:     by_value
      - .offset:         24
        .size:           4
        .value_kind:     hidden_block_count_x
      - .offset:         28
        .size:           4
        .value_kind:     hidden_block_count_y
      - .offset:         32
        .size:           4
        .value_kind:     hidden_block_count_z
      - .offset:         36
        .size:           2
        .value_kind:     hidden_group_size_x
      - .offset:         38
        .size:           2
        .value_kind:     hidden_group_size_y
      - .offset:         40
        .size:           2
        .value_kind:     hidden_group_size_z
      - .offset:         42
        .size:           2
        .value_kind:     hidden_remainder_x
      - .offset:         44
        .size:           2
        .value_kind:     hidden_remainder_y
      - .offset:         46
        .size:           2
        .value_kind:     hidden_remainder_z
      - .offset:         64
        .size:           8
        .value_kind:     hidden_global_offset_x
      - .offset:         72
        .size:           8
        .value_kind:     hidden_global_offset_y
      - .offset:         80
        .size:           8
        .value_kind:     hidden_global_offset_z
      - .offset:         88
        .size:           2
        .value_kind:     hidden_grid_dims
      - .offset:         104
        .size:           8
        .value_kind:     hidden_hostcall_buffer
    .group_segment_fixed_size: 0
    .kernarg_segment_align: 8
    .kernarg_segment_size: 280
    .language:       OpenCL C
    .language_version:
      - 2
      - 0
    .max_flat_workgroup_size: 1024
    .name:           _ZN4vllm18act_and_mul_kernelIf15HIP_vector_typeIfLj2EETnPFT_RKS3_EXadL_ZNS_11silu_kernelIfEES3_S5_EETnPFT0_RKS9_EXadL_ZNS_18packed_silu_kernelIS2_EES3_S5_EELb1ELb1ELb1ELb1EEEvPS3_PS4_if
    .private_segment_fixed_size: 64
    .sgpr_count:     36
    .sgpr_spill_count: 0
    .symbol:         _ZN4vllm18act_and_mul_kernelIf15HIP_vector_typeIfLj2EETnPFT_RKS3_EXadL_ZNS_11silu_kernelIfEES3_S5_EETnPFT0_RKS9_EXadL_ZNS_18packed_silu_kernelIS2_EES3_S5_EELb1ELb1ELb1ELb1EEEvPS3_PS4_if.kd
    .uniform_work_group_size: 1
    .uses_dynamic_stack: false
    .vgpr_count:     51
    .vgpr_spill_count: 0
    .wavefront_size: 32
    .workgroup_processor_mode: 1
  - .args:
      - .actual_access:  read_only
        .address_space:  global
        .offset:         0
        .size:           8
        .value_kind:     global_buffer
      - .actual_access:  read_only
        .address_space:  global
        .offset:         8
        .size:           8
        .value_kind:     global_buffer
      - .offset:         16
        .size:           4
        .value_kind:     by_value
      - .offset:         20
        .size:           4
        .value_kind:     by_value
      - .offset:         24
        .size:           4
        .value_kind:     hidden_block_count_x
      - .offset:         28
        .size:           4
        .value_kind:     hidden_block_count_y
      - .offset:         32
        .size:           4
        .value_kind:     hidden_block_count_z
      - .offset:         36
        .size:           2
        .value_kind:     hidden_group_size_x
      - .offset:         38
        .size:           2
        .value_kind:     hidden_group_size_y
      - .offset:         40
        .size:           2
        .value_kind:     hidden_group_size_z
      - .offset:         42
        .size:           2
        .value_kind:     hidden_remainder_x
      - .offset:         44
        .size:           2
        .value_kind:     hidden_remainder_y
      - .offset:         46
        .size:           2
        .value_kind:     hidden_remainder_z
      - .offset:         64
        .size:           8
        .value_kind:     hidden_global_offset_x
      - .offset:         72
        .size:           8
        .value_kind:     hidden_global_offset_y
      - .offset:         80
        .size:           8
        .value_kind:     hidden_global_offset_z
      - .offset:         88
        .size:           2
        .value_kind:     hidden_grid_dims
      - .offset:         104
        .size:           8
        .value_kind:     hidden_hostcall_buffer
    .group_segment_fixed_size: 0
    .kernarg_segment_align: 8
    .kernarg_segment_size: 280
    .language:       OpenCL C
    .language_version:
      - 2
      - 0
    .max_flat_workgroup_size: 1024
    .name:           _ZN4vllm18act_and_mul_kernelIN3c104HalfE7__half2TnPFT_RKS4_EXadL_ZNS_11silu_kernelIS2_EES4_S6_EETnPFT0_RKSA_EXadL_ZNS_18packed_silu_kernelIS3_EES4_S6_EELb1ELb1ELb1ELb1EEEvPS4_PS5_if
    .private_segment_fixed_size: 64
    .sgpr_count:     36
    .sgpr_spill_count: 0
    .symbol:         _ZN4vllm18act_and_mul_kernelIN3c104HalfE7__half2TnPFT_RKS4_EXadL_ZNS_11silu_kernelIS2_EES4_S6_EETnPFT0_RKSA_EXadL_ZNS_18packed_silu_kernelIS3_EES4_S6_EELb1ELb1ELb1ELb1EEEvPS4_PS5_if.kd
    .uniform_work_group_size: 1
    .uses_dynamic_stack: false
    .vgpr_count:     51
    .vgpr_spill_count: 0
    .wavefront_size: 32
    .workgroup_processor_mode: 1
  - .args:
      - .actual_access:  read_only
        .address_space:  global
        .offset:         0
        .size:           8
        .value_kind:     global_buffer
      - .actual_access:  read_only
        .address_space:  global
        .offset:         8
        .size:           8
        .value_kind:     global_buffer
      - .offset:         16
        .size:           4
        .value_kind:     by_value
      - .offset:         20
        .size:           4
        .value_kind:     by_value
      - .offset:         24
        .size:           4
        .value_kind:     hidden_block_count_x
      - .offset:         28
        .size:           4
        .value_kind:     hidden_block_count_y
      - .offset:         32
        .size:           4
        .value_kind:     hidden_block_count_z
      - .offset:         36
        .size:           2
        .value_kind:     hidden_group_size_x
      - .offset:         38
        .size:           2
        .value_kind:     hidden_group_size_y
      - .offset:         40
        .size:           2
        .value_kind:     hidden_group_size_z
      - .offset:         42
        .size:           2
        .value_kind:     hidden_remainder_x
      - .offset:         44
        .size:           2
        .value_kind:     hidden_remainder_y
      - .offset:         46
        .size:           2
        .value_kind:     hidden_remainder_z
      - .offset:         64
        .size:           8
        .value_kind:     hidden_global_offset_x
      - .offset:         72
        .size:           8
        .value_kind:     hidden_global_offset_y
      - .offset:         80
        .size:           8
        .value_kind:     hidden_global_offset_z
      - .offset:         88
        .size:           2
        .value_kind:     hidden_grid_dims
      - .offset:         104
        .size:           8
        .value_kind:     hidden_hostcall_buffer
    .group_segment_fixed_size: 0
    .kernarg_segment_align: 8
    .kernarg_segment_size: 280
    .language:       OpenCL C
    .language_version:
      - 2
      - 0
    .max_flat_workgroup_size: 1024
    .name:           _ZN4vllm18act_and_mul_kernelIN3c108BFloat16E15__hip_bfloat162TnPFT_RKS4_EXadL_ZNS_11silu_kernelIS2_EES4_S6_EETnPFT0_RKSA_EXadL_ZNS_18packed_silu_kernelIS3_EES4_S6_EELb1ELb1ELb1ELb1EEEvPS4_PS5_if
    .private_segment_fixed_size: 64
    .sgpr_count:     36
    .sgpr_spill_count: 0
    .symbol:         _ZN4vllm18act_and_mul_kernelIN3c108BFloat16E15__hip_bfloat162TnPFT_RKS4_EXadL_ZNS_11silu_kernelIS2_EES4_S6_EETnPFT0_RKSA_EXadL_ZNS_18packed_silu_kernelIS3_EES4_S6_EELb1ELb1ELb1ELb1EEEvPS4_PS5_if.kd
    .uniform_work_group_size: 1
    .uses_dynamic_stack: false
    .vgpr_count:     51
    .vgpr_spill_count: 0
    .wavefront_size: 32
    .workgroup_processor_mode: 1
  - .args:
      - .actual_access:  write_only
        .address_space:  global
        .offset:         0
        .size:           8
        .value_kind:     global_buffer
      - .actual_access:  read_only
        .address_space:  global
        .offset:         8
        .size:           8
        .value_kind:     global_buffer
      - .offset:         16
        .size:           4
        .value_kind:     by_value
      - .offset:         20
        .size:           4
        .value_kind:     by_value
      - .offset:         24
        .size:           4
        .value_kind:     hidden_block_count_x
      - .offset:         28
        .size:           4
        .value_kind:     hidden_block_count_y
      - .offset:         32
        .size:           4
        .value_kind:     hidden_block_count_z
      - .offset:         36
        .size:           2
        .value_kind:     hidden_group_size_x
      - .offset:         38
        .size:           2
        .value_kind:     hidden_group_size_y
      - .offset:         40
        .size:           2
        .value_kind:     hidden_group_size_z
      - .offset:         42
        .size:           2
        .value_kind:     hidden_remainder_x
      - .offset:         44
        .size:           2
        .value_kind:     hidden_remainder_y
      - .offset:         46
        .size:           2
        .value_kind:     hidden_remainder_z
      - .offset:         64
        .size:           8
        .value_kind:     hidden_global_offset_x
      - .offset:         72
        .size:           8
        .value_kind:     hidden_global_offset_y
      - .offset:         80
        .size:           8
        .value_kind:     hidden_global_offset_z
      - .offset:         88
        .size:           2
        .value_kind:     hidden_grid_dims
    .group_segment_fixed_size: 0
    .kernarg_segment_align: 8
    .kernarg_segment_size: 280
    .language:       OpenCL C
    .language_version:
      - 2
      - 0
    .max_flat_workgroup_size: 1024
    .name:           _ZN4vllm18act_and_mul_kernelIf15HIP_vector_typeIfLj2EETnPFT_RKS3_EXadL_ZNS_11silu_kernelIfEES3_S5_EETnPFT0_RKS9_EXadL_ZNS_18packed_silu_kernelIS2_EES3_S5_EELb1ELb1ELb1ELb0EEEvPS3_PS4_if
    .private_segment_fixed_size: 0
    .sgpr_count:     22
    .sgpr_spill_count: 0
    .symbol:         _ZN4vllm18act_and_mul_kernelIf15HIP_vector_typeIfLj2EETnPFT_RKS3_EXadL_ZNS_11silu_kernelIfEES3_S5_EETnPFT0_RKS9_EXadL_ZNS_18packed_silu_kernelIS2_EES3_S5_EELb1ELb1ELb1ELb0EEEvPS3_PS4_if.kd
    .uniform_work_group_size: 1
    .uses_dynamic_stack: false
    .vgpr_count:     43
    .vgpr_spill_count: 0
    .wavefront_size: 32
    .workgroup_processor_mode: 1
  - .args:
      - .actual_access:  write_only
        .address_space:  global
        .offset:         0
        .size:           8
        .value_kind:     global_buffer
      - .actual_access:  read_only
        .address_space:  global
        .offset:         8
        .size:           8
        .value_kind:     global_buffer
      - .offset:         16
        .size:           4
        .value_kind:     by_value
      - .offset:         20
        .size:           4
        .value_kind:     by_value
      - .offset:         24
        .size:           4
        .value_kind:     hidden_block_count_x
      - .offset:         28
        .size:           4
        .value_kind:     hidden_block_count_y
      - .offset:         32
        .size:           4
        .value_kind:     hidden_block_count_z
      - .offset:         36
        .size:           2
        .value_kind:     hidden_group_size_x
      - .offset:         38
        .size:           2
        .value_kind:     hidden_group_size_y
      - .offset:         40
        .size:           2
        .value_kind:     hidden_group_size_z
      - .offset:         42
        .size:           2
        .value_kind:     hidden_remainder_x
      - .offset:         44
        .size:           2
        .value_kind:     hidden_remainder_y
      - .offset:         46
        .size:           2
        .value_kind:     hidden_remainder_z
      - .offset:         64
        .size:           8
        .value_kind:     hidden_global_offset_x
      - .offset:         72
        .size:           8
        .value_kind:     hidden_global_offset_y
      - .offset:         80
        .size:           8
        .value_kind:     hidden_global_offset_z
      - .offset:         88
        .size:           2
        .value_kind:     hidden_grid_dims
    .group_segment_fixed_size: 0
    .kernarg_segment_align: 8
    .kernarg_segment_size: 280
    .language:       OpenCL C
    .language_version:
      - 2
      - 0
    .max_flat_workgroup_size: 1024
    .name:           _ZN4vllm18act_and_mul_kernelIN3c104HalfE7__half2TnPFT_RKS4_EXadL_ZNS_11silu_kernelIS2_EES4_S6_EETnPFT0_RKSA_EXadL_ZNS_18packed_silu_kernelIS3_EES4_S6_EELb1ELb1ELb1ELb0EEEvPS4_PS5_if
    .private_segment_fixed_size: 0
    .sgpr_count:     22
    .sgpr_spill_count: 0
    .symbol:         _ZN4vllm18act_and_mul_kernelIN3c104HalfE7__half2TnPFT_RKS4_EXadL_ZNS_11silu_kernelIS2_EES4_S6_EETnPFT0_RKSA_EXadL_ZNS_18packed_silu_kernelIS3_EES4_S6_EELb1ELb1ELb1ELb0EEEvPS4_PS5_if.kd
    .uniform_work_group_size: 1
    .uses_dynamic_stack: false
    .vgpr_count:     71
    .vgpr_spill_count: 0
    .wavefront_size: 32
    .workgroup_processor_mode: 1
  - .args:
      - .actual_access:  write_only
        .address_space:  global
        .offset:         0
        .size:           8
        .value_kind:     global_buffer
      - .actual_access:  read_only
        .address_space:  global
        .offset:         8
        .size:           8
        .value_kind:     global_buffer
      - .offset:         16
        .size:           4
        .value_kind:     by_value
      - .offset:         20
        .size:           4
        .value_kind:     by_value
      - .offset:         24
        .size:           4
        .value_kind:     hidden_block_count_x
      - .offset:         28
        .size:           4
        .value_kind:     hidden_block_count_y
      - .offset:         32
        .size:           4
        .value_kind:     hidden_block_count_z
      - .offset:         36
        .size:           2
        .value_kind:     hidden_group_size_x
      - .offset:         38
        .size:           2
        .value_kind:     hidden_group_size_y
      - .offset:         40
        .size:           2
        .value_kind:     hidden_group_size_z
      - .offset:         42
        .size:           2
        .value_kind:     hidden_remainder_x
      - .offset:         44
        .size:           2
        .value_kind:     hidden_remainder_y
      - .offset:         46
        .size:           2
        .value_kind:     hidden_remainder_z
      - .offset:         64
        .size:           8
        .value_kind:     hidden_global_offset_x
      - .offset:         72
        .size:           8
        .value_kind:     hidden_global_offset_y
      - .offset:         80
        .size:           8
        .value_kind:     hidden_global_offset_z
      - .offset:         88
        .size:           2
        .value_kind:     hidden_grid_dims
    .group_segment_fixed_size: 0
    .kernarg_segment_align: 8
    .kernarg_segment_size: 280
    .language:       OpenCL C
    .language_version:
      - 2
      - 0
    .max_flat_workgroup_size: 1024
    .name:           _ZN4vllm18act_and_mul_kernelIN3c108BFloat16E15__hip_bfloat162TnPFT_RKS4_EXadL_ZNS_11silu_kernelIS2_EES4_S6_EETnPFT0_RKSA_EXadL_ZNS_18packed_silu_kernelIS3_EES4_S6_EELb1ELb1ELb1ELb0EEEvPS4_PS5_if
    .private_segment_fixed_size: 0
    .sgpr_count:     22
    .sgpr_spill_count: 0
    .symbol:         _ZN4vllm18act_and_mul_kernelIN3c108BFloat16E15__hip_bfloat162TnPFT_RKS4_EXadL_ZNS_11silu_kernelIS2_EES4_S6_EETnPFT0_RKSA_EXadL_ZNS_18packed_silu_kernelIS3_EES4_S6_EELb1ELb1ELb1ELb0EEEvPS4_PS5_if.kd
    .uniform_work_group_size: 1
    .uses_dynamic_stack: false
    .vgpr_count:     25
    .vgpr_spill_count: 0
    .wavefront_size: 32
    .workgroup_processor_mode: 1
  - .args:
      - .actual_access:  write_only
        .address_space:  global
        .offset:         0
        .size:           8
        .value_kind:     global_buffer
      - .actual_access:  read_only
        .address_space:  global
        .offset:         8
        .size:           8
        .value_kind:     global_buffer
      - .offset:         16
        .size:           4
        .value_kind:     by_value
      - .offset:         20
        .size:           4
        .value_kind:     by_value
      - .offset:         24
        .size:           4
        .value_kind:     hidden_block_count_x
      - .offset:         28
        .size:           4
        .value_kind:     hidden_block_count_y
      - .offset:         32
        .size:           4
        .value_kind:     hidden_block_count_z
      - .offset:         36
        .size:           2
        .value_kind:     hidden_group_size_x
      - .offset:         38
        .size:           2
        .value_kind:     hidden_group_size_y
      - .offset:         40
        .size:           2
        .value_kind:     hidden_group_size_z
      - .offset:         42
        .size:           2
        .value_kind:     hidden_remainder_x
      - .offset:         44
        .size:           2
        .value_kind:     hidden_remainder_y
      - .offset:         46
        .size:           2
        .value_kind:     hidden_remainder_z
      - .offset:         64
        .size:           8
        .value_kind:     hidden_global_offset_x
      - .offset:         72
        .size:           8
        .value_kind:     hidden_global_offset_y
      - .offset:         80
        .size:           8
        .value_kind:     hidden_global_offset_z
      - .offset:         88
        .size:           2
        .value_kind:     hidden_grid_dims
    .group_segment_fixed_size: 0
    .kernarg_segment_align: 8
    .kernarg_segment_size: 280
    .language:       OpenCL C
    .language_version:
      - 2
      - 0
    .max_flat_workgroup_size: 1024
    .name:           _ZN4vllm18act_and_mul_kernelIf15HIP_vector_typeIfLj2EETnPFT_RKS3_EXadL_ZNS_11silu_kernelIfEES3_S5_EETnPFT0_RKS9_EXadL_ZNS_18packed_silu_kernelIS2_EES3_S5_EELb1ELb0ELb1ELb0EEEvPS3_PS4_if
    .private_segment_fixed_size: 0
    .sgpr_count:     18
    .sgpr_spill_count: 0
    .symbol:         _ZN4vllm18act_and_mul_kernelIf15HIP_vector_typeIfLj2EETnPFT_RKS3_EXadL_ZNS_11silu_kernelIfEES3_S5_EETnPFT0_RKS9_EXadL_ZNS_18packed_silu_kernelIS2_EES3_S5_EELb1ELb0ELb1ELb0EEEvPS3_PS4_if.kd
    .uniform_work_group_size: 1
    .uses_dynamic_stack: false
    .vgpr_count:     14
    .vgpr_spill_count: 0
    .wavefront_size: 32
    .workgroup_processor_mode: 1
  - .args:
      - .actual_access:  write_only
        .address_space:  global
        .offset:         0
        .size:           8
        .value_kind:     global_buffer
      - .actual_access:  read_only
        .address_space:  global
        .offset:         8
        .size:           8
        .value_kind:     global_buffer
      - .offset:         16
        .size:           4
        .value_kind:     by_value
      - .offset:         20
        .size:           4
        .value_kind:     by_value
      - .offset:         24
        .size:           4
        .value_kind:     hidden_block_count_x
      - .offset:         28
        .size:           4
        .value_kind:     hidden_block_count_y
      - .offset:         32
        .size:           4
        .value_kind:     hidden_block_count_z
      - .offset:         36
        .size:           2
        .value_kind:     hidden_group_size_x
      - .offset:         38
        .size:           2
        .value_kind:     hidden_group_size_y
      - .offset:         40
        .size:           2
        .value_kind:     hidden_group_size_z
      - .offset:         42
        .size:           2
        .value_kind:     hidden_remainder_x
      - .offset:         44
        .size:           2
        .value_kind:     hidden_remainder_y
      - .offset:         46
        .size:           2
        .value_kind:     hidden_remainder_z
      - .offset:         64
        .size:           8
        .value_kind:     hidden_global_offset_x
      - .offset:         72
        .size:           8
        .value_kind:     hidden_global_offset_y
      - .offset:         80
        .size:           8
        .value_kind:     hidden_global_offset_z
      - .offset:         88
        .size:           2
        .value_kind:     hidden_grid_dims
    .group_segment_fixed_size: 0
    .kernarg_segment_align: 8
    .kernarg_segment_size: 280
    .language:       OpenCL C
    .language_version:
      - 2
      - 0
    .max_flat_workgroup_size: 1024
    .name:           _ZN4vllm18act_and_mul_kernelIN3c104HalfE7__half2TnPFT_RKS4_EXadL_ZNS_11silu_kernelIS2_EES4_S6_EETnPFT0_RKSA_EXadL_ZNS_18packed_silu_kernelIS3_EES4_S6_EELb1ELb0ELb1ELb0EEEvPS4_PS5_if
    .private_segment_fixed_size: 0
    .sgpr_count:     23
    .sgpr_spill_count: 0
    .symbol:         _ZN4vllm18act_and_mul_kernelIN3c104HalfE7__half2TnPFT_RKS4_EXadL_ZNS_11silu_kernelIS2_EES4_S6_EETnPFT0_RKSA_EXadL_ZNS_18packed_silu_kernelIS3_EES4_S6_EELb1ELb0ELb1ELb0EEEvPS4_PS5_if.kd
    .uniform_work_group_size: 1
    .uses_dynamic_stack: false
    .vgpr_count:     34
    .vgpr_spill_count: 0
    .wavefront_size: 32
    .workgroup_processor_mode: 1
  - .args:
      - .actual_access:  write_only
        .address_space:  global
        .offset:         0
        .size:           8
        .value_kind:     global_buffer
      - .actual_access:  read_only
        .address_space:  global
        .offset:         8
        .size:           8
        .value_kind:     global_buffer
      - .offset:         16
        .size:           4
        .value_kind:     by_value
      - .offset:         20
        .size:           4
        .value_kind:     by_value
      - .offset:         24
        .size:           4
        .value_kind:     hidden_block_count_x
      - .offset:         28
        .size:           4
        .value_kind:     hidden_block_count_y
      - .offset:         32
        .size:           4
        .value_kind:     hidden_block_count_z
      - .offset:         36
        .size:           2
        .value_kind:     hidden_group_size_x
      - .offset:         38
        .size:           2
        .value_kind:     hidden_group_size_y
      - .offset:         40
        .size:           2
        .value_kind:     hidden_group_size_z
      - .offset:         42
        .size:           2
        .value_kind:     hidden_remainder_x
      - .offset:         44
        .size:           2
        .value_kind:     hidden_remainder_y
      - .offset:         46
        .size:           2
        .value_kind:     hidden_remainder_z
      - .offset:         64
        .size:           8
        .value_kind:     hidden_global_offset_x
      - .offset:         72
        .size:           8
        .value_kind:     hidden_global_offset_y
      - .offset:         80
        .size:           8
        .value_kind:     hidden_global_offset_z
      - .offset:         88
        .size:           2
        .value_kind:     hidden_grid_dims
    .group_segment_fixed_size: 0
    .kernarg_segment_align: 8
    .kernarg_segment_size: 280
    .language:       OpenCL C
    .language_version:
      - 2
      - 0
    .max_flat_workgroup_size: 1024
    .name:           _ZN4vllm18act_and_mul_kernelIN3c108BFloat16E15__hip_bfloat162TnPFT_RKS4_EXadL_ZNS_11silu_kernelIS2_EES4_S6_EETnPFT0_RKSA_EXadL_ZNS_18packed_silu_kernelIS3_EES4_S6_EELb1ELb0ELb1ELb0EEEvPS4_PS5_if
    .private_segment_fixed_size: 0
    .sgpr_count:     23
    .sgpr_spill_count: 0
    .symbol:         _ZN4vllm18act_and_mul_kernelIN3c108BFloat16E15__hip_bfloat162TnPFT_RKS4_EXadL_ZNS_11silu_kernelIS2_EES4_S6_EETnPFT0_RKSA_EXadL_ZNS_18packed_silu_kernelIS3_EES4_S6_EELb1ELb0ELb1ELb0EEEvPS4_PS5_if.kd
    .uniform_work_group_size: 1
    .uses_dynamic_stack: false
    .vgpr_count:     36
    .vgpr_spill_count: 0
    .wavefront_size: 32
    .workgroup_processor_mode: 1
  - .args:
      - .actual_access:  read_only
        .address_space:  global
        .offset:         0
        .size:           8
        .value_kind:     global_buffer
      - .actual_access:  read_only
        .address_space:  global
        .offset:         8
        .size:           8
        .value_kind:     global_buffer
      - .offset:         16
        .size:           4
        .value_kind:     by_value
      - .offset:         20
        .size:           4
        .value_kind:     by_value
      - .offset:         24
        .size:           4
        .value_kind:     hidden_block_count_x
      - .offset:         28
        .size:           4
        .value_kind:     hidden_block_count_y
      - .offset:         32
        .size:           4
        .value_kind:     hidden_block_count_z
      - .offset:         36
        .size:           2
        .value_kind:     hidden_group_size_x
      - .offset:         38
        .size:           2
        .value_kind:     hidden_group_size_y
      - .offset:         40
        .size:           2
        .value_kind:     hidden_group_size_z
      - .offset:         42
        .size:           2
        .value_kind:     hidden_remainder_x
      - .offset:         44
        .size:           2
        .value_kind:     hidden_remainder_y
      - .offset:         46
        .size:           2
        .value_kind:     hidden_remainder_z
      - .offset:         64
        .size:           8
        .value_kind:     hidden_global_offset_x
      - .offset:         72
        .size:           8
        .value_kind:     hidden_global_offset_y
      - .offset:         80
        .size:           8
        .value_kind:     hidden_global_offset_z
      - .offset:         88
        .size:           2
        .value_kind:     hidden_grid_dims
      - .offset:         104
        .size:           8
        .value_kind:     hidden_hostcall_buffer
    .group_segment_fixed_size: 0
    .kernarg_segment_align: 8
    .kernarg_segment_size: 280
    .language:       OpenCL C
    .language_version:
      - 2
      - 0
    .max_flat_workgroup_size: 1024
    .name:           _ZN4vllm18act_and_mul_kernelIf15HIP_vector_typeIfLj2EETnPFT_RKS3_EXadL_ZNS_11silu_kernelIfEES3_S5_EETnPFT0_RKS9_EXadL_ZNS_18packed_silu_kernelIS2_EES3_S5_EELb0ELb1ELb0ELb1EEEvPS3_PS4_if
    .private_segment_fixed_size: 64
    .sgpr_count:     36
    .sgpr_spill_count: 0
    .symbol:         _ZN4vllm18act_and_mul_kernelIf15HIP_vector_typeIfLj2EETnPFT_RKS3_EXadL_ZNS_11silu_kernelIfEES3_S5_EETnPFT0_RKS9_EXadL_ZNS_18packed_silu_kernelIS2_EES3_S5_EELb0ELb1ELb0ELb1EEEvPS3_PS4_if.kd
    .uniform_work_group_size: 1
    .uses_dynamic_stack: false
    .vgpr_count:     51
    .vgpr_spill_count: 0
    .wavefront_size: 32
    .workgroup_processor_mode: 1
  - .args:
      - .actual_access:  read_only
        .address_space:  global
        .offset:         0
        .size:           8
        .value_kind:     global_buffer
      - .actual_access:  read_only
        .address_space:  global
        .offset:         8
        .size:           8
        .value_kind:     global_buffer
      - .offset:         16
        .size:           4
        .value_kind:     by_value
      - .offset:         20
        .size:           4
        .value_kind:     by_value
      - .offset:         24
        .size:           4
        .value_kind:     hidden_block_count_x
      - .offset:         28
        .size:           4
        .value_kind:     hidden_block_count_y
      - .offset:         32
        .size:           4
        .value_kind:     hidden_block_count_z
      - .offset:         36
        .size:           2
        .value_kind:     hidden_group_size_x
      - .offset:         38
        .size:           2
        .value_kind:     hidden_group_size_y
      - .offset:         40
        .size:           2
        .value_kind:     hidden_group_size_z
      - .offset:         42
        .size:           2
        .value_kind:     hidden_remainder_x
      - .offset:         44
        .size:           2
        .value_kind:     hidden_remainder_y
      - .offset:         46
        .size:           2
        .value_kind:     hidden_remainder_z
      - .offset:         64
        .size:           8
        .value_kind:     hidden_global_offset_x
      - .offset:         72
        .size:           8
        .value_kind:     hidden_global_offset_y
      - .offset:         80
        .size:           8
        .value_kind:     hidden_global_offset_z
      - .offset:         88
        .size:           2
        .value_kind:     hidden_grid_dims
      - .offset:         104
        .size:           8
        .value_kind:     hidden_hostcall_buffer
    .group_segment_fixed_size: 0
    .kernarg_segment_align: 8
    .kernarg_segment_size: 280
    .language:       OpenCL C
    .language_version:
      - 2
      - 0
    .max_flat_workgroup_size: 1024
    .name:           _ZN4vllm18act_and_mul_kernelIN3c104HalfE7__half2TnPFT_RKS4_EXadL_ZNS_11silu_kernelIS2_EES4_S6_EETnPFT0_RKSA_EXadL_ZNS_18packed_silu_kernelIS3_EES4_S6_EELb0ELb1ELb0ELb1EEEvPS4_PS5_if
    .private_segment_fixed_size: 64
    .sgpr_count:     36
    .sgpr_spill_count: 0
    .symbol:         _ZN4vllm18act_and_mul_kernelIN3c104HalfE7__half2TnPFT_RKS4_EXadL_ZNS_11silu_kernelIS2_EES4_S6_EETnPFT0_RKSA_EXadL_ZNS_18packed_silu_kernelIS3_EES4_S6_EELb0ELb1ELb0ELb1EEEvPS4_PS5_if.kd
    .uniform_work_group_size: 1
    .uses_dynamic_stack: false
    .vgpr_count:     51
    .vgpr_spill_count: 0
    .wavefront_size: 32
    .workgroup_processor_mode: 1
  - .args:
      - .actual_access:  read_only
        .address_space:  global
        .offset:         0
        .size:           8
        .value_kind:     global_buffer
      - .actual_access:  read_only
        .address_space:  global
        .offset:         8
        .size:           8
        .value_kind:     global_buffer
      - .offset:         16
        .size:           4
        .value_kind:     by_value
      - .offset:         20
        .size:           4
        .value_kind:     by_value
      - .offset:         24
        .size:           4
        .value_kind:     hidden_block_count_x
      - .offset:         28
        .size:           4
        .value_kind:     hidden_block_count_y
      - .offset:         32
        .size:           4
        .value_kind:     hidden_block_count_z
      - .offset:         36
        .size:           2
        .value_kind:     hidden_group_size_x
      - .offset:         38
        .size:           2
        .value_kind:     hidden_group_size_y
      - .offset:         40
        .size:           2
        .value_kind:     hidden_group_size_z
      - .offset:         42
        .size:           2
        .value_kind:     hidden_remainder_x
      - .offset:         44
        .size:           2
        .value_kind:     hidden_remainder_y
      - .offset:         46
        .size:           2
        .value_kind:     hidden_remainder_z
      - .offset:         64
        .size:           8
        .value_kind:     hidden_global_offset_x
      - .offset:         72
        .size:           8
        .value_kind:     hidden_global_offset_y
      - .offset:         80
        .size:           8
        .value_kind:     hidden_global_offset_z
      - .offset:         88
        .size:           2
        .value_kind:     hidden_grid_dims
      - .offset:         104
        .size:           8
        .value_kind:     hidden_hostcall_buffer
    .group_segment_fixed_size: 0
    .kernarg_segment_align: 8
    .kernarg_segment_size: 280
    .language:       OpenCL C
    .language_version:
      - 2
      - 0
    .max_flat_workgroup_size: 1024
    .name:           _ZN4vllm18act_and_mul_kernelIN3c108BFloat16E15__hip_bfloat162TnPFT_RKS4_EXadL_ZNS_11silu_kernelIS2_EES4_S6_EETnPFT0_RKSA_EXadL_ZNS_18packed_silu_kernelIS3_EES4_S6_EELb0ELb1ELb0ELb1EEEvPS4_PS5_if
    .private_segment_fixed_size: 64
    .sgpr_count:     36
    .sgpr_spill_count: 0
    .symbol:         _ZN4vllm18act_and_mul_kernelIN3c108BFloat16E15__hip_bfloat162TnPFT_RKS4_EXadL_ZNS_11silu_kernelIS2_EES4_S6_EETnPFT0_RKSA_EXadL_ZNS_18packed_silu_kernelIS3_EES4_S6_EELb0ELb1ELb0ELb1EEEvPS4_PS5_if.kd
    .uniform_work_group_size: 1
    .uses_dynamic_stack: false
    .vgpr_count:     51
    .vgpr_spill_count: 0
    .wavefront_size: 32
    .workgroup_processor_mode: 1
  - .args:
      - .actual_access:  write_only
        .address_space:  global
        .offset:         0
        .size:           8
        .value_kind:     global_buffer
      - .actual_access:  read_only
        .address_space:  global
        .offset:         8
        .size:           8
        .value_kind:     global_buffer
      - .offset:         16
        .size:           4
        .value_kind:     by_value
      - .offset:         20
        .size:           4
        .value_kind:     by_value
      - .offset:         24
        .size:           4
        .value_kind:     hidden_block_count_x
      - .offset:         28
        .size:           4
        .value_kind:     hidden_block_count_y
      - .offset:         32
        .size:           4
        .value_kind:     hidden_block_count_z
      - .offset:         36
        .size:           2
        .value_kind:     hidden_group_size_x
      - .offset:         38
        .size:           2
        .value_kind:     hidden_group_size_y
      - .offset:         40
        .size:           2
        .value_kind:     hidden_group_size_z
      - .offset:         42
        .size:           2
        .value_kind:     hidden_remainder_x
      - .offset:         44
        .size:           2
        .value_kind:     hidden_remainder_y
      - .offset:         46
        .size:           2
        .value_kind:     hidden_remainder_z
      - .offset:         64
        .size:           8
        .value_kind:     hidden_global_offset_x
      - .offset:         72
        .size:           8
        .value_kind:     hidden_global_offset_y
      - .offset:         80
        .size:           8
        .value_kind:     hidden_global_offset_z
      - .offset:         88
        .size:           2
        .value_kind:     hidden_grid_dims
    .group_segment_fixed_size: 0
    .kernarg_segment_align: 8
    .kernarg_segment_size: 280
    .language:       OpenCL C
    .language_version:
      - 2
      - 0
    .max_flat_workgroup_size: 1024
    .name:           _ZN4vllm18act_and_mul_kernelIf15HIP_vector_typeIfLj2EETnPFT_RKS3_EXadL_ZNS_11silu_kernelIfEES3_S5_EETnPFT0_RKS9_EXadL_ZNS_18packed_silu_kernelIS2_EES3_S5_EELb0ELb1ELb0ELb0EEEvPS3_PS4_if
    .private_segment_fixed_size: 0
    .sgpr_count:     22
    .sgpr_spill_count: 0
    .symbol:         _ZN4vllm18act_and_mul_kernelIf15HIP_vector_typeIfLj2EETnPFT_RKS3_EXadL_ZNS_11silu_kernelIfEES3_S5_EETnPFT0_RKS9_EXadL_ZNS_18packed_silu_kernelIS2_EES3_S5_EELb0ELb1ELb0ELb0EEEvPS3_PS4_if.kd
    .uniform_work_group_size: 1
    .uses_dynamic_stack: false
    .vgpr_count:     41
    .vgpr_spill_count: 0
    .wavefront_size: 32
    .workgroup_processor_mode: 1
  - .args:
      - .actual_access:  write_only
        .address_space:  global
        .offset:         0
        .size:           8
        .value_kind:     global_buffer
      - .actual_access:  read_only
        .address_space:  global
        .offset:         8
        .size:           8
        .value_kind:     global_buffer
      - .offset:         16
        .size:           4
        .value_kind:     by_value
      - .offset:         20
        .size:           4
        .value_kind:     by_value
      - .offset:         24
        .size:           4
        .value_kind:     hidden_block_count_x
      - .offset:         28
        .size:           4
        .value_kind:     hidden_block_count_y
      - .offset:         32
        .size:           4
        .value_kind:     hidden_block_count_z
      - .offset:         36
        .size:           2
        .value_kind:     hidden_group_size_x
      - .offset:         38
        .size:           2
        .value_kind:     hidden_group_size_y
      - .offset:         40
        .size:           2
        .value_kind:     hidden_group_size_z
      - .offset:         42
        .size:           2
        .value_kind:     hidden_remainder_x
      - .offset:         44
        .size:           2
        .value_kind:     hidden_remainder_y
      - .offset:         46
        .size:           2
        .value_kind:     hidden_remainder_z
      - .offset:         64
        .size:           8
        .value_kind:     hidden_global_offset_x
      - .offset:         72
        .size:           8
        .value_kind:     hidden_global_offset_y
      - .offset:         80
        .size:           8
        .value_kind:     hidden_global_offset_z
      - .offset:         88
        .size:           2
        .value_kind:     hidden_grid_dims
    .group_segment_fixed_size: 0
    .kernarg_segment_align: 8
    .kernarg_segment_size: 280
    .language:       OpenCL C
    .language_version:
      - 2
      - 0
    .max_flat_workgroup_size: 1024
    .name:           _ZN4vllm18act_and_mul_kernelIN3c104HalfE7__half2TnPFT_RKS4_EXadL_ZNS_11silu_kernelIS2_EES4_S6_EETnPFT0_RKSA_EXadL_ZNS_18packed_silu_kernelIS3_EES4_S6_EELb0ELb1ELb0ELb0EEEvPS4_PS5_if
    .private_segment_fixed_size: 0
    .sgpr_count:     22
    .sgpr_spill_count: 0
    .symbol:         _ZN4vllm18act_and_mul_kernelIN3c104HalfE7__half2TnPFT_RKS4_EXadL_ZNS_11silu_kernelIS2_EES4_S6_EETnPFT0_RKSA_EXadL_ZNS_18packed_silu_kernelIS3_EES4_S6_EELb0ELb1ELb0ELb0EEEvPS4_PS5_if.kd
    .uniform_work_group_size: 1
    .uses_dynamic_stack: false
    .vgpr_count:     66
    .vgpr_spill_count: 0
    .wavefront_size: 32
    .workgroup_processor_mode: 1
  - .args:
      - .actual_access:  write_only
        .address_space:  global
        .offset:         0
        .size:           8
        .value_kind:     global_buffer
      - .actual_access:  read_only
        .address_space:  global
        .offset:         8
        .size:           8
        .value_kind:     global_buffer
      - .offset:         16
        .size:           4
        .value_kind:     by_value
      - .offset:         20
        .size:           4
        .value_kind:     by_value
      - .offset:         24
        .size:           4
        .value_kind:     hidden_block_count_x
      - .offset:         28
        .size:           4
        .value_kind:     hidden_block_count_y
      - .offset:         32
        .size:           4
        .value_kind:     hidden_block_count_z
      - .offset:         36
        .size:           2
        .value_kind:     hidden_group_size_x
      - .offset:         38
        .size:           2
        .value_kind:     hidden_group_size_y
      - .offset:         40
        .size:           2
        .value_kind:     hidden_group_size_z
      - .offset:         42
        .size:           2
        .value_kind:     hidden_remainder_x
      - .offset:         44
        .size:           2
        .value_kind:     hidden_remainder_y
      - .offset:         46
        .size:           2
        .value_kind:     hidden_remainder_z
      - .offset:         64
        .size:           8
        .value_kind:     hidden_global_offset_x
      - .offset:         72
        .size:           8
        .value_kind:     hidden_global_offset_y
      - .offset:         80
        .size:           8
        .value_kind:     hidden_global_offset_z
      - .offset:         88
        .size:           2
        .value_kind:     hidden_grid_dims
    .group_segment_fixed_size: 0
    .kernarg_segment_align: 8
    .kernarg_segment_size: 280
    .language:       OpenCL C
    .language_version:
      - 2
      - 0
    .max_flat_workgroup_size: 1024
    .name:           _ZN4vllm18act_and_mul_kernelIN3c108BFloat16E15__hip_bfloat162TnPFT_RKS4_EXadL_ZNS_11silu_kernelIS2_EES4_S6_EETnPFT0_RKSA_EXadL_ZNS_18packed_silu_kernelIS3_EES4_S6_EELb0ELb1ELb0ELb0EEEvPS4_PS5_if
    .private_segment_fixed_size: 0
    .sgpr_count:     18
    .sgpr_spill_count: 0
    .symbol:         _ZN4vllm18act_and_mul_kernelIN3c108BFloat16E15__hip_bfloat162TnPFT_RKS4_EXadL_ZNS_11silu_kernelIS2_EES4_S6_EETnPFT0_RKSA_EXadL_ZNS_18packed_silu_kernelIS3_EES4_S6_EELb0ELb1ELb0ELb0EEEvPS4_PS5_if.kd
    .uniform_work_group_size: 1
    .uses_dynamic_stack: false
    .vgpr_count:     22
    .vgpr_spill_count: 0
    .wavefront_size: 32
    .workgroup_processor_mode: 1
  - .args:
      - .actual_access:  write_only
        .address_space:  global
        .offset:         0
        .size:           8
        .value_kind:     global_buffer
      - .actual_access:  read_only
        .address_space:  global
        .offset:         8
        .size:           8
        .value_kind:     global_buffer
      - .offset:         16
        .size:           4
        .value_kind:     by_value
      - .offset:         20
        .size:           4
        .value_kind:     by_value
      - .offset:         24
        .size:           4
        .value_kind:     hidden_block_count_x
      - .offset:         28
        .size:           4
        .value_kind:     hidden_block_count_y
      - .offset:         32
        .size:           4
        .value_kind:     hidden_block_count_z
      - .offset:         36
        .size:           2
        .value_kind:     hidden_group_size_x
      - .offset:         38
        .size:           2
        .value_kind:     hidden_group_size_y
      - .offset:         40
        .size:           2
        .value_kind:     hidden_group_size_z
      - .offset:         42
        .size:           2
        .value_kind:     hidden_remainder_x
      - .offset:         44
        .size:           2
        .value_kind:     hidden_remainder_y
      - .offset:         46
        .size:           2
        .value_kind:     hidden_remainder_z
      - .offset:         64
        .size:           8
        .value_kind:     hidden_global_offset_x
      - .offset:         72
        .size:           8
        .value_kind:     hidden_global_offset_y
      - .offset:         80
        .size:           8
        .value_kind:     hidden_global_offset_z
      - .offset:         88
        .size:           2
        .value_kind:     hidden_grid_dims
    .group_segment_fixed_size: 0
    .kernarg_segment_align: 8
    .kernarg_segment_size: 280
    .language:       OpenCL C
    .language_version:
      - 2
      - 0
    .max_flat_workgroup_size: 1024
    .name:           _ZN4vllm18act_and_mul_kernelIf15HIP_vector_typeIfLj2EETnPFT_RKS3_EXadL_ZNS_11silu_kernelIfEES3_S5_EETnPFT0_RKS9_EXadL_ZNS_18packed_silu_kernelIS2_EES3_S5_EELb0ELb0ELb0ELb0EEEvPS3_PS4_if
    .private_segment_fixed_size: 0
    .sgpr_count:     18
    .sgpr_spill_count: 0
    .symbol:         _ZN4vllm18act_and_mul_kernelIf15HIP_vector_typeIfLj2EETnPFT_RKS3_EXadL_ZNS_11silu_kernelIfEES3_S5_EETnPFT0_RKS9_EXadL_ZNS_18packed_silu_kernelIS2_EES3_S5_EELb0ELb0ELb0ELb0EEEvPS3_PS4_if.kd
    .uniform_work_group_size: 1
    .uses_dynamic_stack: false
    .vgpr_count:     12
    .vgpr_spill_count: 0
    .wavefront_size: 32
    .workgroup_processor_mode: 1
  - .args:
      - .actual_access:  write_only
        .address_space:  global
        .offset:         0
        .size:           8
        .value_kind:     global_buffer
      - .actual_access:  read_only
        .address_space:  global
        .offset:         8
        .size:           8
        .value_kind:     global_buffer
      - .offset:         16
        .size:           4
        .value_kind:     by_value
      - .offset:         20
        .size:           4
        .value_kind:     by_value
      - .offset:         24
        .size:           4
        .value_kind:     hidden_block_count_x
      - .offset:         28
        .size:           4
        .value_kind:     hidden_block_count_y
      - .offset:         32
        .size:           4
        .value_kind:     hidden_block_count_z
      - .offset:         36
        .size:           2
        .value_kind:     hidden_group_size_x
      - .offset:         38
        .size:           2
        .value_kind:     hidden_group_size_y
      - .offset:         40
        .size:           2
        .value_kind:     hidden_group_size_z
      - .offset:         42
        .size:           2
        .value_kind:     hidden_remainder_x
      - .offset:         44
        .size:           2
        .value_kind:     hidden_remainder_y
      - .offset:         46
        .size:           2
        .value_kind:     hidden_remainder_z
      - .offset:         64
        .size:           8
        .value_kind:     hidden_global_offset_x
      - .offset:         72
        .size:           8
        .value_kind:     hidden_global_offset_y
      - .offset:         80
        .size:           8
        .value_kind:     hidden_global_offset_z
      - .offset:         88
        .size:           2
        .value_kind:     hidden_grid_dims
    .group_segment_fixed_size: 0
    .kernarg_segment_align: 8
    .kernarg_segment_size: 280
    .language:       OpenCL C
    .language_version:
      - 2
      - 0
    .max_flat_workgroup_size: 1024
    .name:           _ZN4vllm18act_and_mul_kernelIN3c104HalfE7__half2TnPFT_RKS4_EXadL_ZNS_11silu_kernelIS2_EES4_S6_EETnPFT0_RKSA_EXadL_ZNS_18packed_silu_kernelIS3_EES4_S6_EELb0ELb0ELb0ELb0EEEvPS4_PS5_if
    .private_segment_fixed_size: 0
    .sgpr_count:     21
    .sgpr_spill_count: 0
    .symbol:         _ZN4vllm18act_and_mul_kernelIN3c104HalfE7__half2TnPFT_RKS4_EXadL_ZNS_11silu_kernelIS2_EES4_S6_EETnPFT0_RKSA_EXadL_ZNS_18packed_silu_kernelIS3_EES4_S6_EELb0ELb0ELb0ELb0EEEvPS4_PS5_if.kd
    .uniform_work_group_size: 1
    .uses_dynamic_stack: false
    .vgpr_count:     29
    .vgpr_spill_count: 0
    .wavefront_size: 32
    .workgroup_processor_mode: 1
  - .args:
      - .actual_access:  write_only
        .address_space:  global
        .offset:         0
        .size:           8
        .value_kind:     global_buffer
      - .actual_access:  read_only
        .address_space:  global
        .offset:         8
        .size:           8
        .value_kind:     global_buffer
      - .offset:         16
        .size:           4
        .value_kind:     by_value
      - .offset:         20
        .size:           4
        .value_kind:     by_value
      - .offset:         24
        .size:           4
        .value_kind:     hidden_block_count_x
      - .offset:         28
        .size:           4
        .value_kind:     hidden_block_count_y
      - .offset:         32
        .size:           4
        .value_kind:     hidden_block_count_z
      - .offset:         36
        .size:           2
        .value_kind:     hidden_group_size_x
      - .offset:         38
        .size:           2
        .value_kind:     hidden_group_size_y
      - .offset:         40
        .size:           2
        .value_kind:     hidden_group_size_z
      - .offset:         42
        .size:           2
        .value_kind:     hidden_remainder_x
      - .offset:         44
        .size:           2
        .value_kind:     hidden_remainder_y
      - .offset:         46
        .size:           2
        .value_kind:     hidden_remainder_z
      - .offset:         64
        .size:           8
        .value_kind:     hidden_global_offset_x
      - .offset:         72
        .size:           8
        .value_kind:     hidden_global_offset_y
      - .offset:         80
        .size:           8
        .value_kind:     hidden_global_offset_z
      - .offset:         88
        .size:           2
        .value_kind:     hidden_grid_dims
    .group_segment_fixed_size: 0
    .kernarg_segment_align: 8
    .kernarg_segment_size: 280
    .language:       OpenCL C
    .language_version:
      - 2
      - 0
    .max_flat_workgroup_size: 1024
    .name:           _ZN4vllm18act_and_mul_kernelIN3c108BFloat16E15__hip_bfloat162TnPFT_RKS4_EXadL_ZNS_11silu_kernelIS2_EES4_S6_EETnPFT0_RKSA_EXadL_ZNS_18packed_silu_kernelIS3_EES4_S6_EELb0ELb0ELb0ELb0EEEvPS4_PS5_if
    .private_segment_fixed_size: 0
    .sgpr_count:     20
    .sgpr_spill_count: 0
    .symbol:         _ZN4vllm18act_and_mul_kernelIN3c108BFloat16E15__hip_bfloat162TnPFT_RKS4_EXadL_ZNS_11silu_kernelIS2_EES4_S6_EETnPFT0_RKSA_EXadL_ZNS_18packed_silu_kernelIS3_EES4_S6_EELb0ELb0ELb0ELb0EEEvPS4_PS5_if.kd
    .uniform_work_group_size: 1
    .uses_dynamic_stack: false
    .vgpr_count:     29
    .vgpr_spill_count: 0
    .wavefront_size: 32
    .workgroup_processor_mode: 1
  - .args:
      - .actual_access:  read_only
        .address_space:  global
        .offset:         0
        .size:           8
        .value_kind:     global_buffer
      - .actual_access:  read_only
        .address_space:  global
        .offset:         8
        .size:           8
        .value_kind:     global_buffer
      - .offset:         16
        .size:           4
        .value_kind:     by_value
      - .offset:         20
        .size:           4
        .value_kind:     by_value
      - .offset:         24
        .size:           4
        .value_kind:     hidden_block_count_x
      - .offset:         28
        .size:           4
        .value_kind:     hidden_block_count_y
      - .offset:         32
        .size:           4
        .value_kind:     hidden_block_count_z
      - .offset:         36
        .size:           2
        .value_kind:     hidden_group_size_x
      - .offset:         38
        .size:           2
        .value_kind:     hidden_group_size_y
      - .offset:         40
        .size:           2
        .value_kind:     hidden_group_size_z
      - .offset:         42
        .size:           2
        .value_kind:     hidden_remainder_x
      - .offset:         44
        .size:           2
        .value_kind:     hidden_remainder_y
      - .offset:         46
        .size:           2
        .value_kind:     hidden_remainder_z
      - .offset:         64
        .size:           8
        .value_kind:     hidden_global_offset_x
      - .offset:         72
        .size:           8
        .value_kind:     hidden_global_offset_y
      - .offset:         80
        .size:           8
        .value_kind:     hidden_global_offset_z
      - .offset:         88
        .size:           2
        .value_kind:     hidden_grid_dims
      - .offset:         104
        .size:           8
        .value_kind:     hidden_hostcall_buffer
    .group_segment_fixed_size: 0
    .kernarg_segment_align: 8
    .kernarg_segment_size: 280
    .language:       OpenCL C
    .language_version:
      - 2
      - 0
    .max_flat_workgroup_size: 1024
    .name:           _ZN4vllm18act_and_mul_kernelIf15HIP_vector_typeIfLj2EETnPFT_RKS3_EXadL_ZNS_11gelu_kernelIfEES3_S5_EETnPFT0_RKS9_EXadL_ZNS_18packed_gelu_kernelIS2_EES3_S5_EELb1ELb1ELb0ELb1EEEvPS3_PS4_if
    .private_segment_fixed_size: 64
    .sgpr_count:     36
    .sgpr_spill_count: 0
    .symbol:         _ZN4vllm18act_and_mul_kernelIf15HIP_vector_typeIfLj2EETnPFT_RKS3_EXadL_ZNS_11gelu_kernelIfEES3_S5_EETnPFT0_RKS9_EXadL_ZNS_18packed_gelu_kernelIS2_EES3_S5_EELb1ELb1ELb0ELb1EEEvPS3_PS4_if.kd
    .uniform_work_group_size: 1
    .uses_dynamic_stack: false
    .vgpr_count:     51
    .vgpr_spill_count: 0
    .wavefront_size: 32
    .workgroup_processor_mode: 1
  - .args:
      - .actual_access:  read_only
        .address_space:  global
        .offset:         0
        .size:           8
        .value_kind:     global_buffer
      - .actual_access:  read_only
        .address_space:  global
        .offset:         8
        .size:           8
        .value_kind:     global_buffer
      - .offset:         16
        .size:           4
        .value_kind:     by_value
      - .offset:         20
        .size:           4
        .value_kind:     by_value
      - .offset:         24
        .size:           4
        .value_kind:     hidden_block_count_x
      - .offset:         28
        .size:           4
        .value_kind:     hidden_block_count_y
      - .offset:         32
        .size:           4
        .value_kind:     hidden_block_count_z
      - .offset:         36
        .size:           2
        .value_kind:     hidden_group_size_x
      - .offset:         38
        .size:           2
        .value_kind:     hidden_group_size_y
      - .offset:         40
        .size:           2
        .value_kind:     hidden_group_size_z
      - .offset:         42
        .size:           2
        .value_kind:     hidden_remainder_x
      - .offset:         44
        .size:           2
        .value_kind:     hidden_remainder_y
      - .offset:         46
        .size:           2
        .value_kind:     hidden_remainder_z
      - .offset:         64
        .size:           8
        .value_kind:     hidden_global_offset_x
      - .offset:         72
        .size:           8
        .value_kind:     hidden_global_offset_y
      - .offset:         80
        .size:           8
        .value_kind:     hidden_global_offset_z
      - .offset:         88
        .size:           2
        .value_kind:     hidden_grid_dims
      - .offset:         104
        .size:           8
        .value_kind:     hidden_hostcall_buffer
    .group_segment_fixed_size: 0
    .kernarg_segment_align: 8
    .kernarg_segment_size: 280
    .language:       OpenCL C
    .language_version:
      - 2
      - 0
    .max_flat_workgroup_size: 1024
    .name:           _ZN4vllm18act_and_mul_kernelIN3c104HalfE7__half2TnPFT_RKS4_EXadL_ZNS_11gelu_kernelIS2_EES4_S6_EETnPFT0_RKSA_EXadL_ZNS_18packed_gelu_kernelIS3_EES4_S6_EELb1ELb1ELb0ELb1EEEvPS4_PS5_if
    .private_segment_fixed_size: 64
    .sgpr_count:     36
    .sgpr_spill_count: 0
    .symbol:         _ZN4vllm18act_and_mul_kernelIN3c104HalfE7__half2TnPFT_RKS4_EXadL_ZNS_11gelu_kernelIS2_EES4_S6_EETnPFT0_RKSA_EXadL_ZNS_18packed_gelu_kernelIS3_EES4_S6_EELb1ELb1ELb0ELb1EEEvPS4_PS5_if.kd
    .uniform_work_group_size: 1
    .uses_dynamic_stack: false
    .vgpr_count:     51
    .vgpr_spill_count: 0
    .wavefront_size: 32
    .workgroup_processor_mode: 1
  - .args:
      - .actual_access:  read_only
        .address_space:  global
        .offset:         0
        .size:           8
        .value_kind:     global_buffer
      - .actual_access:  read_only
        .address_space:  global
        .offset:         8
        .size:           8
        .value_kind:     global_buffer
      - .offset:         16
        .size:           4
        .value_kind:     by_value
      - .offset:         20
        .size:           4
        .value_kind:     by_value
      - .offset:         24
        .size:           4
        .value_kind:     hidden_block_count_x
      - .offset:         28
        .size:           4
        .value_kind:     hidden_block_count_y
      - .offset:         32
        .size:           4
        .value_kind:     hidden_block_count_z
      - .offset:         36
        .size:           2
        .value_kind:     hidden_group_size_x
      - .offset:         38
        .size:           2
        .value_kind:     hidden_group_size_y
      - .offset:         40
        .size:           2
        .value_kind:     hidden_group_size_z
      - .offset:         42
        .size:           2
        .value_kind:     hidden_remainder_x
      - .offset:         44
        .size:           2
        .value_kind:     hidden_remainder_y
      - .offset:         46
        .size:           2
        .value_kind:     hidden_remainder_z
      - .offset:         64
        .size:           8
        .value_kind:     hidden_global_offset_x
      - .offset:         72
        .size:           8
        .value_kind:     hidden_global_offset_y
      - .offset:         80
        .size:           8
        .value_kind:     hidden_global_offset_z
      - .offset:         88
        .size:           2
        .value_kind:     hidden_grid_dims
      - .offset:         104
        .size:           8
        .value_kind:     hidden_hostcall_buffer
    .group_segment_fixed_size: 0
    .kernarg_segment_align: 8
    .kernarg_segment_size: 280
    .language:       OpenCL C
    .language_version:
      - 2
      - 0
    .max_flat_workgroup_size: 1024
    .name:           _ZN4vllm18act_and_mul_kernelIN3c108BFloat16E15__hip_bfloat162TnPFT_RKS4_EXadL_ZNS_11gelu_kernelIS2_EES4_S6_EETnPFT0_RKSA_EXadL_ZNS_18packed_gelu_kernelIS3_EES4_S6_EELb1ELb1ELb0ELb1EEEvPS4_PS5_if
    .private_segment_fixed_size: 64
    .sgpr_count:     36
    .sgpr_spill_count: 0
    .symbol:         _ZN4vllm18act_and_mul_kernelIN3c108BFloat16E15__hip_bfloat162TnPFT_RKS4_EXadL_ZNS_11gelu_kernelIS2_EES4_S6_EETnPFT0_RKSA_EXadL_ZNS_18packed_gelu_kernelIS3_EES4_S6_EELb1ELb1ELb0ELb1EEEvPS4_PS5_if.kd
    .uniform_work_group_size: 1
    .uses_dynamic_stack: false
    .vgpr_count:     51
    .vgpr_spill_count: 0
    .wavefront_size: 32
    .workgroup_processor_mode: 1
  - .args:
      - .actual_access:  write_only
        .address_space:  global
        .offset:         0
        .size:           8
        .value_kind:     global_buffer
      - .actual_access:  read_only
        .address_space:  global
        .offset:         8
        .size:           8
        .value_kind:     global_buffer
      - .offset:         16
        .size:           4
        .value_kind:     by_value
      - .offset:         20
        .size:           4
        .value_kind:     by_value
      - .offset:         24
        .size:           4
        .value_kind:     hidden_block_count_x
      - .offset:         28
        .size:           4
        .value_kind:     hidden_block_count_y
      - .offset:         32
        .size:           4
        .value_kind:     hidden_block_count_z
      - .offset:         36
        .size:           2
        .value_kind:     hidden_group_size_x
      - .offset:         38
        .size:           2
        .value_kind:     hidden_group_size_y
      - .offset:         40
        .size:           2
        .value_kind:     hidden_group_size_z
      - .offset:         42
        .size:           2
        .value_kind:     hidden_remainder_x
      - .offset:         44
        .size:           2
        .value_kind:     hidden_remainder_y
      - .offset:         46
        .size:           2
        .value_kind:     hidden_remainder_z
      - .offset:         64
        .size:           8
        .value_kind:     hidden_global_offset_x
      - .offset:         72
        .size:           8
        .value_kind:     hidden_global_offset_y
      - .offset:         80
        .size:           8
        .value_kind:     hidden_global_offset_z
      - .offset:         88
        .size:           2
        .value_kind:     hidden_grid_dims
    .group_segment_fixed_size: 0
    .kernarg_segment_align: 8
    .kernarg_segment_size: 280
    .language:       OpenCL C
    .language_version:
      - 2
      - 0
    .max_flat_workgroup_size: 1024
    .name:           _ZN4vllm18act_and_mul_kernelIf15HIP_vector_typeIfLj2EETnPFT_RKS3_EXadL_ZNS_11gelu_kernelIfEES3_S5_EETnPFT0_RKS9_EXadL_ZNS_18packed_gelu_kernelIS2_EES3_S5_EELb1ELb1ELb0ELb0EEEvPS3_PS4_if
    .private_segment_fixed_size: 0
    .sgpr_count:     18
    .sgpr_spill_count: 0
    .symbol:         _ZN4vllm18act_and_mul_kernelIf15HIP_vector_typeIfLj2EETnPFT_RKS3_EXadL_ZNS_11gelu_kernelIfEES3_S5_EETnPFT0_RKS9_EXadL_ZNS_18packed_gelu_kernelIS2_EES3_S5_EELb1ELb1ELb0ELb0EEEvPS3_PS4_if.kd
    .uniform_work_group_size: 1
    .uses_dynamic_stack: false
    .vgpr_count:     26
    .vgpr_spill_count: 0
    .wavefront_size: 32
    .workgroup_processor_mode: 1
  - .args:
      - .actual_access:  write_only
        .address_space:  global
        .offset:         0
        .size:           8
        .value_kind:     global_buffer
      - .actual_access:  read_only
        .address_space:  global
        .offset:         8
        .size:           8
        .value_kind:     global_buffer
      - .offset:         16
        .size:           4
        .value_kind:     by_value
      - .offset:         20
        .size:           4
        .value_kind:     by_value
      - .offset:         24
        .size:           4
        .value_kind:     hidden_block_count_x
      - .offset:         28
        .size:           4
        .value_kind:     hidden_block_count_y
      - .offset:         32
        .size:           4
        .value_kind:     hidden_block_count_z
      - .offset:         36
        .size:           2
        .value_kind:     hidden_group_size_x
      - .offset:         38
        .size:           2
        .value_kind:     hidden_group_size_y
      - .offset:         40
        .size:           2
        .value_kind:     hidden_group_size_z
      - .offset:         42
        .size:           2
        .value_kind:     hidden_remainder_x
      - .offset:         44
        .size:           2
        .value_kind:     hidden_remainder_y
      - .offset:         46
        .size:           2
        .value_kind:     hidden_remainder_z
      - .offset:         64
        .size:           8
        .value_kind:     hidden_global_offset_x
      - .offset:         72
        .size:           8
        .value_kind:     hidden_global_offset_y
      - .offset:         80
        .size:           8
        .value_kind:     hidden_global_offset_z
      - .offset:         88
        .size:           2
        .value_kind:     hidden_grid_dims
    .group_segment_fixed_size: 0
    .kernarg_segment_align: 8
    .kernarg_segment_size: 280
    .language:       OpenCL C
    .language_version:
      - 2
      - 0
    .max_flat_workgroup_size: 1024
    .name:           _ZN4vllm18act_and_mul_kernelIN3c104HalfE7__half2TnPFT_RKS4_EXadL_ZNS_11gelu_kernelIS2_EES4_S6_EETnPFT0_RKSA_EXadL_ZNS_18packed_gelu_kernelIS3_EES4_S6_EELb1ELb1ELb0ELb0EEEvPS4_PS5_if
    .private_segment_fixed_size: 0
    .sgpr_count:     18
    .sgpr_spill_count: 0
    .symbol:         _ZN4vllm18act_and_mul_kernelIN3c104HalfE7__half2TnPFT_RKS4_EXadL_ZNS_11gelu_kernelIS2_EES4_S6_EETnPFT0_RKSA_EXadL_ZNS_18packed_gelu_kernelIS3_EES4_S6_EELb1ELb1ELb0ELb0EEEvPS4_PS5_if.kd
    .uniform_work_group_size: 1
    .uses_dynamic_stack: false
    .vgpr_count:     38
    .vgpr_spill_count: 0
    .wavefront_size: 32
    .workgroup_processor_mode: 1
  - .args:
      - .actual_access:  write_only
        .address_space:  global
        .offset:         0
        .size:           8
        .value_kind:     global_buffer
      - .actual_access:  read_only
        .address_space:  global
        .offset:         8
        .size:           8
        .value_kind:     global_buffer
      - .offset:         16
        .size:           4
        .value_kind:     by_value
      - .offset:         20
        .size:           4
        .value_kind:     by_value
      - .offset:         24
        .size:           4
        .value_kind:     hidden_block_count_x
      - .offset:         28
        .size:           4
        .value_kind:     hidden_block_count_y
      - .offset:         32
        .size:           4
        .value_kind:     hidden_block_count_z
      - .offset:         36
        .size:           2
        .value_kind:     hidden_group_size_x
      - .offset:         38
        .size:           2
        .value_kind:     hidden_group_size_y
      - .offset:         40
        .size:           2
        .value_kind:     hidden_group_size_z
      - .offset:         42
        .size:           2
        .value_kind:     hidden_remainder_x
      - .offset:         44
        .size:           2
        .value_kind:     hidden_remainder_y
      - .offset:         46
        .size:           2
        .value_kind:     hidden_remainder_z
      - .offset:         64
        .size:           8
        .value_kind:     hidden_global_offset_x
      - .offset:         72
        .size:           8
        .value_kind:     hidden_global_offset_y
      - .offset:         80
        .size:           8
        .value_kind:     hidden_global_offset_z
      - .offset:         88
        .size:           2
        .value_kind:     hidden_grid_dims
    .group_segment_fixed_size: 0
    .kernarg_segment_align: 8
    .kernarg_segment_size: 280
    .language:       OpenCL C
    .language_version:
      - 2
      - 0
    .max_flat_workgroup_size: 1024
    .name:           _ZN4vllm18act_and_mul_kernelIN3c108BFloat16E15__hip_bfloat162TnPFT_RKS4_EXadL_ZNS_11gelu_kernelIS2_EES4_S6_EETnPFT0_RKSA_EXadL_ZNS_18packed_gelu_kernelIS3_EES4_S6_EELb1ELb1ELb0ELb0EEEvPS4_PS5_if
    .private_segment_fixed_size: 0
    .sgpr_count:     18
    .sgpr_spill_count: 0
    .symbol:         _ZN4vllm18act_and_mul_kernelIN3c108BFloat16E15__hip_bfloat162TnPFT_RKS4_EXadL_ZNS_11gelu_kernelIS2_EES4_S6_EETnPFT0_RKSA_EXadL_ZNS_18packed_gelu_kernelIS3_EES4_S6_EELb1ELb1ELb0ELb0EEEvPS4_PS5_if.kd
    .uniform_work_group_size: 1
    .uses_dynamic_stack: false
    .vgpr_count:     23
    .vgpr_spill_count: 0
    .wavefront_size: 32
    .workgroup_processor_mode: 1
  - .args:
      - .actual_access:  write_only
        .address_space:  global
        .offset:         0
        .size:           8
        .value_kind:     global_buffer
      - .actual_access:  read_only
        .address_space:  global
        .offset:         8
        .size:           8
        .value_kind:     global_buffer
      - .offset:         16
        .size:           4
        .value_kind:     by_value
      - .offset:         20
        .size:           4
        .value_kind:     by_value
      - .offset:         24
        .size:           4
        .value_kind:     hidden_block_count_x
      - .offset:         28
        .size:           4
        .value_kind:     hidden_block_count_y
      - .offset:         32
        .size:           4
        .value_kind:     hidden_block_count_z
      - .offset:         36
        .size:           2
        .value_kind:     hidden_group_size_x
      - .offset:         38
        .size:           2
        .value_kind:     hidden_group_size_y
      - .offset:         40
        .size:           2
        .value_kind:     hidden_group_size_z
      - .offset:         42
        .size:           2
        .value_kind:     hidden_remainder_x
      - .offset:         44
        .size:           2
        .value_kind:     hidden_remainder_y
      - .offset:         46
        .size:           2
        .value_kind:     hidden_remainder_z
      - .offset:         64
        .size:           8
        .value_kind:     hidden_global_offset_x
      - .offset:         72
        .size:           8
        .value_kind:     hidden_global_offset_y
      - .offset:         80
        .size:           8
        .value_kind:     hidden_global_offset_z
      - .offset:         88
        .size:           2
        .value_kind:     hidden_grid_dims
    .group_segment_fixed_size: 0
    .kernarg_segment_align: 8
    .kernarg_segment_size: 280
    .language:       OpenCL C
    .language_version:
      - 2
      - 0
    .max_flat_workgroup_size: 1024
    .name:           _ZN4vllm18act_and_mul_kernelIf15HIP_vector_typeIfLj2EETnPFT_RKS3_EXadL_ZNS_11gelu_kernelIfEES3_S5_EETnPFT0_RKS9_EXadL_ZNS_18packed_gelu_kernelIS2_EES3_S5_EELb1ELb0ELb0ELb0EEEvPS3_PS4_if
    .private_segment_fixed_size: 0
    .sgpr_count:     18
    .sgpr_spill_count: 0
    .symbol:         _ZN4vllm18act_and_mul_kernelIf15HIP_vector_typeIfLj2EETnPFT_RKS3_EXadL_ZNS_11gelu_kernelIfEES3_S5_EETnPFT0_RKS9_EXadL_ZNS_18packed_gelu_kernelIS2_EES3_S5_EELb1ELb0ELb0ELb0EEEvPS3_PS4_if.kd
    .uniform_work_group_size: 1
    .uses_dynamic_stack: false
    .vgpr_count:     11
    .vgpr_spill_count: 0
    .wavefront_size: 32
    .workgroup_processor_mode: 1
  - .args:
      - .actual_access:  write_only
        .address_space:  global
        .offset:         0
        .size:           8
        .value_kind:     global_buffer
      - .actual_access:  read_only
        .address_space:  global
        .offset:         8
        .size:           8
        .value_kind:     global_buffer
      - .offset:         16
        .size:           4
        .value_kind:     by_value
      - .offset:         20
        .size:           4
        .value_kind:     by_value
      - .offset:         24
        .size:           4
        .value_kind:     hidden_block_count_x
      - .offset:         28
        .size:           4
        .value_kind:     hidden_block_count_y
      - .offset:         32
        .size:           4
        .value_kind:     hidden_block_count_z
      - .offset:         36
        .size:           2
        .value_kind:     hidden_group_size_x
      - .offset:         38
        .size:           2
        .value_kind:     hidden_group_size_y
      - .offset:         40
        .size:           2
        .value_kind:     hidden_group_size_z
      - .offset:         42
        .size:           2
        .value_kind:     hidden_remainder_x
      - .offset:         44
        .size:           2
        .value_kind:     hidden_remainder_y
      - .offset:         46
        .size:           2
        .value_kind:     hidden_remainder_z
      - .offset:         64
        .size:           8
        .value_kind:     hidden_global_offset_x
      - .offset:         72
        .size:           8
        .value_kind:     hidden_global_offset_y
      - .offset:         80
        .size:           8
        .value_kind:     hidden_global_offset_z
      - .offset:         88
        .size:           2
        .value_kind:     hidden_grid_dims
    .group_segment_fixed_size: 0
    .kernarg_segment_align: 8
    .kernarg_segment_size: 280
    .language:       OpenCL C
    .language_version:
      - 2
      - 0
    .max_flat_workgroup_size: 1024
    .name:           _ZN4vllm18act_and_mul_kernelIN3c104HalfE7__half2TnPFT_RKS4_EXadL_ZNS_11gelu_kernelIS2_EES4_S6_EETnPFT0_RKSA_EXadL_ZNS_18packed_gelu_kernelIS3_EES4_S6_EELb1ELb0ELb0ELb0EEEvPS4_PS5_if
    .private_segment_fixed_size: 0
    .sgpr_count:     18
    .sgpr_spill_count: 0
    .symbol:         _ZN4vllm18act_and_mul_kernelIN3c104HalfE7__half2TnPFT_RKS4_EXadL_ZNS_11gelu_kernelIS2_EES4_S6_EETnPFT0_RKSA_EXadL_ZNS_18packed_gelu_kernelIS3_EES4_S6_EELb1ELb0ELb0ELb0EEEvPS4_PS5_if.kd
    .uniform_work_group_size: 1
    .uses_dynamic_stack: false
    .vgpr_count:     11
    .vgpr_spill_count: 0
    .wavefront_size: 32
    .workgroup_processor_mode: 1
  - .args:
      - .actual_access:  write_only
        .address_space:  global
        .offset:         0
        .size:           8
        .value_kind:     global_buffer
      - .actual_access:  read_only
        .address_space:  global
        .offset:         8
        .size:           8
        .value_kind:     global_buffer
      - .offset:         16
        .size:           4
        .value_kind:     by_value
      - .offset:         20
        .size:           4
        .value_kind:     by_value
      - .offset:         24
        .size:           4
        .value_kind:     hidden_block_count_x
      - .offset:         28
        .size:           4
        .value_kind:     hidden_block_count_y
      - .offset:         32
        .size:           4
        .value_kind:     hidden_block_count_z
      - .offset:         36
        .size:           2
        .value_kind:     hidden_group_size_x
      - .offset:         38
        .size:           2
        .value_kind:     hidden_group_size_y
      - .offset:         40
        .size:           2
        .value_kind:     hidden_group_size_z
      - .offset:         42
        .size:           2
        .value_kind:     hidden_remainder_x
      - .offset:         44
        .size:           2
        .value_kind:     hidden_remainder_y
      - .offset:         46
        .size:           2
        .value_kind:     hidden_remainder_z
      - .offset:         64
        .size:           8
        .value_kind:     hidden_global_offset_x
      - .offset:         72
        .size:           8
        .value_kind:     hidden_global_offset_y
      - .offset:         80
        .size:           8
        .value_kind:     hidden_global_offset_z
      - .offset:         88
        .size:           2
        .value_kind:     hidden_grid_dims
    .group_segment_fixed_size: 0
    .kernarg_segment_align: 8
    .kernarg_segment_size: 280
    .language:       OpenCL C
    .language_version:
      - 2
      - 0
    .max_flat_workgroup_size: 1024
    .name:           _ZN4vllm18act_and_mul_kernelIN3c108BFloat16E15__hip_bfloat162TnPFT_RKS4_EXadL_ZNS_11gelu_kernelIS2_EES4_S6_EETnPFT0_RKSA_EXadL_ZNS_18packed_gelu_kernelIS3_EES4_S6_EELb1ELb0ELb0ELb0EEEvPS4_PS5_if
    .private_segment_fixed_size: 0
    .sgpr_count:     21
    .sgpr_spill_count: 0
    .symbol:         _ZN4vllm18act_and_mul_kernelIN3c108BFloat16E15__hip_bfloat162TnPFT_RKS4_EXadL_ZNS_11gelu_kernelIS2_EES4_S6_EETnPFT0_RKSA_EXadL_ZNS_18packed_gelu_kernelIS3_EES4_S6_EELb1ELb0ELb0ELb0EEEvPS4_PS5_if.kd
    .uniform_work_group_size: 1
    .uses_dynamic_stack: false
    .vgpr_count:     31
    .vgpr_spill_count: 0
    .wavefront_size: 32
    .workgroup_processor_mode: 1
  - .args:
      - .actual_access:  read_only
        .address_space:  global
        .offset:         0
        .size:           8
        .value_kind:     global_buffer
      - .actual_access:  read_only
        .address_space:  global
        .offset:         8
        .size:           8
        .value_kind:     global_buffer
      - .offset:         16
        .size:           4
        .value_kind:     by_value
      - .offset:         20
        .size:           4
        .value_kind:     by_value
      - .offset:         24
        .size:           4
        .value_kind:     hidden_block_count_x
      - .offset:         28
        .size:           4
        .value_kind:     hidden_block_count_y
      - .offset:         32
        .size:           4
        .value_kind:     hidden_block_count_z
      - .offset:         36
        .size:           2
        .value_kind:     hidden_group_size_x
      - .offset:         38
        .size:           2
        .value_kind:     hidden_group_size_y
      - .offset:         40
        .size:           2
        .value_kind:     hidden_group_size_z
      - .offset:         42
        .size:           2
        .value_kind:     hidden_remainder_x
      - .offset:         44
        .size:           2
        .value_kind:     hidden_remainder_y
      - .offset:         46
        .size:           2
        .value_kind:     hidden_remainder_z
      - .offset:         64
        .size:           8
        .value_kind:     hidden_global_offset_x
      - .offset:         72
        .size:           8
        .value_kind:     hidden_global_offset_y
      - .offset:         80
        .size:           8
        .value_kind:     hidden_global_offset_z
      - .offset:         88
        .size:           2
        .value_kind:     hidden_grid_dims
      - .offset:         104
        .size:           8
        .value_kind:     hidden_hostcall_buffer
    .group_segment_fixed_size: 0
    .kernarg_segment_align: 8
    .kernarg_segment_size: 280
    .language:       OpenCL C
    .language_version:
      - 2
      - 0
    .max_flat_workgroup_size: 1024
    .name:           _ZN4vllm18act_and_mul_kernelIf15HIP_vector_typeIfLj2EETnPFT_RKS3_EXadL_ZNS_16gelu_tanh_kernelIfEES3_S5_EETnPFT0_RKS9_EXadL_ZNS_23packed_gelu_tanh_kernelIS2_EES3_S5_EELb1ELb1ELb0ELb1EEEvPS3_PS4_if
    .private_segment_fixed_size: 64
    .sgpr_count:     36
    .sgpr_spill_count: 0
    .symbol:         _ZN4vllm18act_and_mul_kernelIf15HIP_vector_typeIfLj2EETnPFT_RKS3_EXadL_ZNS_16gelu_tanh_kernelIfEES3_S5_EETnPFT0_RKS9_EXadL_ZNS_23packed_gelu_tanh_kernelIS2_EES3_S5_EELb1ELb1ELb0ELb1EEEvPS3_PS4_if.kd
    .uniform_work_group_size: 1
    .uses_dynamic_stack: false
    .vgpr_count:     51
    .vgpr_spill_count: 0
    .wavefront_size: 32
    .workgroup_processor_mode: 1
  - .args:
      - .actual_access:  read_only
        .address_space:  global
        .offset:         0
        .size:           8
        .value_kind:     global_buffer
      - .actual_access:  read_only
        .address_space:  global
        .offset:         8
        .size:           8
        .value_kind:     global_buffer
      - .offset:         16
        .size:           4
        .value_kind:     by_value
      - .offset:         20
        .size:           4
        .value_kind:     by_value
      - .offset:         24
        .size:           4
        .value_kind:     hidden_block_count_x
      - .offset:         28
        .size:           4
        .value_kind:     hidden_block_count_y
      - .offset:         32
        .size:           4
        .value_kind:     hidden_block_count_z
      - .offset:         36
        .size:           2
        .value_kind:     hidden_group_size_x
      - .offset:         38
        .size:           2
        .value_kind:     hidden_group_size_y
      - .offset:         40
        .size:           2
        .value_kind:     hidden_group_size_z
      - .offset:         42
        .size:           2
        .value_kind:     hidden_remainder_x
      - .offset:         44
        .size:           2
        .value_kind:     hidden_remainder_y
      - .offset:         46
        .size:           2
        .value_kind:     hidden_remainder_z
      - .offset:         64
        .size:           8
        .value_kind:     hidden_global_offset_x
      - .offset:         72
        .size:           8
        .value_kind:     hidden_global_offset_y
      - .offset:         80
        .size:           8
        .value_kind:     hidden_global_offset_z
      - .offset:         88
        .size:           2
        .value_kind:     hidden_grid_dims
      - .offset:         104
        .size:           8
        .value_kind:     hidden_hostcall_buffer
    .group_segment_fixed_size: 0
    .kernarg_segment_align: 8
    .kernarg_segment_size: 280
    .language:       OpenCL C
    .language_version:
      - 2
      - 0
    .max_flat_workgroup_size: 1024
    .name:           _ZN4vllm18act_and_mul_kernelIN3c104HalfE7__half2TnPFT_RKS4_EXadL_ZNS_16gelu_tanh_kernelIS2_EES4_S6_EETnPFT0_RKSA_EXadL_ZNS_23packed_gelu_tanh_kernelIS3_EES4_S6_EELb1ELb1ELb0ELb1EEEvPS4_PS5_if
    .private_segment_fixed_size: 64
    .sgpr_count:     36
    .sgpr_spill_count: 0
    .symbol:         _ZN4vllm18act_and_mul_kernelIN3c104HalfE7__half2TnPFT_RKS4_EXadL_ZNS_16gelu_tanh_kernelIS2_EES4_S6_EETnPFT0_RKSA_EXadL_ZNS_23packed_gelu_tanh_kernelIS3_EES4_S6_EELb1ELb1ELb0ELb1EEEvPS4_PS5_if.kd
    .uniform_work_group_size: 1
    .uses_dynamic_stack: false
    .vgpr_count:     51
    .vgpr_spill_count: 0
    .wavefront_size: 32
    .workgroup_processor_mode: 1
  - .args:
      - .actual_access:  read_only
        .address_space:  global
        .offset:         0
        .size:           8
        .value_kind:     global_buffer
      - .actual_access:  read_only
        .address_space:  global
        .offset:         8
        .size:           8
        .value_kind:     global_buffer
      - .offset:         16
        .size:           4
        .value_kind:     by_value
      - .offset:         20
        .size:           4
        .value_kind:     by_value
      - .offset:         24
        .size:           4
        .value_kind:     hidden_block_count_x
      - .offset:         28
        .size:           4
        .value_kind:     hidden_block_count_y
      - .offset:         32
        .size:           4
        .value_kind:     hidden_block_count_z
      - .offset:         36
        .size:           2
        .value_kind:     hidden_group_size_x
      - .offset:         38
        .size:           2
        .value_kind:     hidden_group_size_y
      - .offset:         40
        .size:           2
        .value_kind:     hidden_group_size_z
      - .offset:         42
        .size:           2
        .value_kind:     hidden_remainder_x
      - .offset:         44
        .size:           2
        .value_kind:     hidden_remainder_y
      - .offset:         46
        .size:           2
        .value_kind:     hidden_remainder_z
      - .offset:         64
        .size:           8
        .value_kind:     hidden_global_offset_x
      - .offset:         72
        .size:           8
        .value_kind:     hidden_global_offset_y
      - .offset:         80
        .size:           8
        .value_kind:     hidden_global_offset_z
      - .offset:         88
        .size:           2
        .value_kind:     hidden_grid_dims
      - .offset:         104
        .size:           8
        .value_kind:     hidden_hostcall_buffer
    .group_segment_fixed_size: 0
    .kernarg_segment_align: 8
    .kernarg_segment_size: 280
    .language:       OpenCL C
    .language_version:
      - 2
      - 0
    .max_flat_workgroup_size: 1024
    .name:           _ZN4vllm18act_and_mul_kernelIN3c108BFloat16E15__hip_bfloat162TnPFT_RKS4_EXadL_ZNS_16gelu_tanh_kernelIS2_EES4_S6_EETnPFT0_RKSA_EXadL_ZNS_23packed_gelu_tanh_kernelIS3_EES4_S6_EELb1ELb1ELb0ELb1EEEvPS4_PS5_if
    .private_segment_fixed_size: 64
    .sgpr_count:     36
    .sgpr_spill_count: 0
    .symbol:         _ZN4vllm18act_and_mul_kernelIN3c108BFloat16E15__hip_bfloat162TnPFT_RKS4_EXadL_ZNS_16gelu_tanh_kernelIS2_EES4_S6_EETnPFT0_RKSA_EXadL_ZNS_23packed_gelu_tanh_kernelIS3_EES4_S6_EELb1ELb1ELb0ELb1EEEvPS4_PS5_if.kd
    .uniform_work_group_size: 1
    .uses_dynamic_stack: false
    .vgpr_count:     51
    .vgpr_spill_count: 0
    .wavefront_size: 32
    .workgroup_processor_mode: 1
  - .args:
      - .actual_access:  write_only
        .address_space:  global
        .offset:         0
        .size:           8
        .value_kind:     global_buffer
      - .actual_access:  read_only
        .address_space:  global
        .offset:         8
        .size:           8
        .value_kind:     global_buffer
      - .offset:         16
        .size:           4
        .value_kind:     by_value
      - .offset:         20
        .size:           4
        .value_kind:     by_value
      - .offset:         24
        .size:           4
        .value_kind:     hidden_block_count_x
      - .offset:         28
        .size:           4
        .value_kind:     hidden_block_count_y
      - .offset:         32
        .size:           4
        .value_kind:     hidden_block_count_z
      - .offset:         36
        .size:           2
        .value_kind:     hidden_group_size_x
      - .offset:         38
        .size:           2
        .value_kind:     hidden_group_size_y
      - .offset:         40
        .size:           2
        .value_kind:     hidden_group_size_z
      - .offset:         42
        .size:           2
        .value_kind:     hidden_remainder_x
      - .offset:         44
        .size:           2
        .value_kind:     hidden_remainder_y
      - .offset:         46
        .size:           2
        .value_kind:     hidden_remainder_z
      - .offset:         64
        .size:           8
        .value_kind:     hidden_global_offset_x
      - .offset:         72
        .size:           8
        .value_kind:     hidden_global_offset_y
      - .offset:         80
        .size:           8
        .value_kind:     hidden_global_offset_z
      - .offset:         88
        .size:           2
        .value_kind:     hidden_grid_dims
    .group_segment_fixed_size: 0
    .kernarg_segment_align: 8
    .kernarg_segment_size: 280
    .language:       OpenCL C
    .language_version:
      - 2
      - 0
    .max_flat_workgroup_size: 1024
    .name:           _ZN4vllm18act_and_mul_kernelIf15HIP_vector_typeIfLj2EETnPFT_RKS3_EXadL_ZNS_16gelu_tanh_kernelIfEES3_S5_EETnPFT0_RKS9_EXadL_ZNS_23packed_gelu_tanh_kernelIS2_EES3_S5_EELb1ELb1ELb0ELb0EEEvPS3_PS4_if
    .private_segment_fixed_size: 0
    .sgpr_count:     18
    .sgpr_spill_count: 0
    .symbol:         _ZN4vllm18act_and_mul_kernelIf15HIP_vector_typeIfLj2EETnPFT_RKS3_EXadL_ZNS_16gelu_tanh_kernelIfEES3_S5_EETnPFT0_RKS9_EXadL_ZNS_23packed_gelu_tanh_kernelIS2_EES3_S5_EELb1ELb1ELb0ELb0EEEvPS3_PS4_if.kd
    .uniform_work_group_size: 1
    .uses_dynamic_stack: false
    .vgpr_count:     26
    .vgpr_spill_count: 0
    .wavefront_size: 32
    .workgroup_processor_mode: 1
  - .args:
      - .actual_access:  write_only
        .address_space:  global
        .offset:         0
        .size:           8
        .value_kind:     global_buffer
      - .actual_access:  read_only
        .address_space:  global
        .offset:         8
        .size:           8
        .value_kind:     global_buffer
      - .offset:         16
        .size:           4
        .value_kind:     by_value
      - .offset:         20
        .size:           4
        .value_kind:     by_value
      - .offset:         24
        .size:           4
        .value_kind:     hidden_block_count_x
      - .offset:         28
        .size:           4
        .value_kind:     hidden_block_count_y
      - .offset:         32
        .size:           4
        .value_kind:     hidden_block_count_z
      - .offset:         36
        .size:           2
        .value_kind:     hidden_group_size_x
      - .offset:         38
        .size:           2
        .value_kind:     hidden_group_size_y
      - .offset:         40
        .size:           2
        .value_kind:     hidden_group_size_z
      - .offset:         42
        .size:           2
        .value_kind:     hidden_remainder_x
      - .offset:         44
        .size:           2
        .value_kind:     hidden_remainder_y
      - .offset:         46
        .size:           2
        .value_kind:     hidden_remainder_z
      - .offset:         64
        .size:           8
        .value_kind:     hidden_global_offset_x
      - .offset:         72
        .size:           8
        .value_kind:     hidden_global_offset_y
      - .offset:         80
        .size:           8
        .value_kind:     hidden_global_offset_z
      - .offset:         88
        .size:           2
        .value_kind:     hidden_grid_dims
    .group_segment_fixed_size: 0
    .kernarg_segment_align: 8
    .kernarg_segment_size: 280
    .language:       OpenCL C
    .language_version:
      - 2
      - 0
    .max_flat_workgroup_size: 1024
    .name:           _ZN4vllm18act_and_mul_kernelIN3c104HalfE7__half2TnPFT_RKS4_EXadL_ZNS_16gelu_tanh_kernelIS2_EES4_S6_EETnPFT0_RKSA_EXadL_ZNS_23packed_gelu_tanh_kernelIS3_EES4_S6_EELb1ELb1ELb0ELb0EEEvPS4_PS5_if
    .private_segment_fixed_size: 0
    .sgpr_count:     18
    .sgpr_spill_count: 0
    .symbol:         _ZN4vllm18act_and_mul_kernelIN3c104HalfE7__half2TnPFT_RKS4_EXadL_ZNS_16gelu_tanh_kernelIS2_EES4_S6_EETnPFT0_RKSA_EXadL_ZNS_23packed_gelu_tanh_kernelIS3_EES4_S6_EELb1ELb1ELb0ELb0EEEvPS4_PS5_if.kd
    .uniform_work_group_size: 1
    .uses_dynamic_stack: false
    .vgpr_count:     38
    .vgpr_spill_count: 0
    .wavefront_size: 32
    .workgroup_processor_mode: 1
  - .args:
      - .actual_access:  write_only
        .address_space:  global
        .offset:         0
        .size:           8
        .value_kind:     global_buffer
      - .actual_access:  read_only
        .address_space:  global
        .offset:         8
        .size:           8
        .value_kind:     global_buffer
      - .offset:         16
        .size:           4
        .value_kind:     by_value
      - .offset:         20
        .size:           4
        .value_kind:     by_value
      - .offset:         24
        .size:           4
        .value_kind:     hidden_block_count_x
      - .offset:         28
        .size:           4
        .value_kind:     hidden_block_count_y
      - .offset:         32
        .size:           4
        .value_kind:     hidden_block_count_z
      - .offset:         36
        .size:           2
        .value_kind:     hidden_group_size_x
      - .offset:         38
        .size:           2
        .value_kind:     hidden_group_size_y
      - .offset:         40
        .size:           2
        .value_kind:     hidden_group_size_z
      - .offset:         42
        .size:           2
        .value_kind:     hidden_remainder_x
      - .offset:         44
        .size:           2
        .value_kind:     hidden_remainder_y
      - .offset:         46
        .size:           2
        .value_kind:     hidden_remainder_z
      - .offset:         64
        .size:           8
        .value_kind:     hidden_global_offset_x
      - .offset:         72
        .size:           8
        .value_kind:     hidden_global_offset_y
      - .offset:         80
        .size:           8
        .value_kind:     hidden_global_offset_z
      - .offset:         88
        .size:           2
        .value_kind:     hidden_grid_dims
    .group_segment_fixed_size: 0
    .kernarg_segment_align: 8
    .kernarg_segment_size: 280
    .language:       OpenCL C
    .language_version:
      - 2
      - 0
    .max_flat_workgroup_size: 1024
    .name:           _ZN4vllm18act_and_mul_kernelIN3c108BFloat16E15__hip_bfloat162TnPFT_RKS4_EXadL_ZNS_16gelu_tanh_kernelIS2_EES4_S6_EETnPFT0_RKSA_EXadL_ZNS_23packed_gelu_tanh_kernelIS3_EES4_S6_EELb1ELb1ELb0ELb0EEEvPS4_PS5_if
    .private_segment_fixed_size: 0
    .sgpr_count:     18
    .sgpr_spill_count: 0
    .symbol:         _ZN4vllm18act_and_mul_kernelIN3c108BFloat16E15__hip_bfloat162TnPFT_RKS4_EXadL_ZNS_16gelu_tanh_kernelIS2_EES4_S6_EETnPFT0_RKSA_EXadL_ZNS_23packed_gelu_tanh_kernelIS3_EES4_S6_EELb1ELb1ELb0ELb0EEEvPS4_PS5_if.kd
    .uniform_work_group_size: 1
    .uses_dynamic_stack: false
    .vgpr_count:     23
    .vgpr_spill_count: 0
    .wavefront_size: 32
    .workgroup_processor_mode: 1
  - .args:
      - .actual_access:  write_only
        .address_space:  global
        .offset:         0
        .size:           8
        .value_kind:     global_buffer
      - .actual_access:  read_only
        .address_space:  global
        .offset:         8
        .size:           8
        .value_kind:     global_buffer
      - .offset:         16
        .size:           4
        .value_kind:     by_value
      - .offset:         20
        .size:           4
        .value_kind:     by_value
      - .offset:         24
        .size:           4
        .value_kind:     hidden_block_count_x
      - .offset:         28
        .size:           4
        .value_kind:     hidden_block_count_y
      - .offset:         32
        .size:           4
        .value_kind:     hidden_block_count_z
      - .offset:         36
        .size:           2
        .value_kind:     hidden_group_size_x
      - .offset:         38
        .size:           2
        .value_kind:     hidden_group_size_y
      - .offset:         40
        .size:           2
        .value_kind:     hidden_group_size_z
      - .offset:         42
        .size:           2
        .value_kind:     hidden_remainder_x
      - .offset:         44
        .size:           2
        .value_kind:     hidden_remainder_y
      - .offset:         46
        .size:           2
        .value_kind:     hidden_remainder_z
      - .offset:         64
        .size:           8
        .value_kind:     hidden_global_offset_x
      - .offset:         72
        .size:           8
        .value_kind:     hidden_global_offset_y
      - .offset:         80
        .size:           8
        .value_kind:     hidden_global_offset_z
      - .offset:         88
        .size:           2
        .value_kind:     hidden_grid_dims
    .group_segment_fixed_size: 0
    .kernarg_segment_align: 8
    .kernarg_segment_size: 280
    .language:       OpenCL C
    .language_version:
      - 2
      - 0
    .max_flat_workgroup_size: 1024
    .name:           _ZN4vllm18act_and_mul_kernelIf15HIP_vector_typeIfLj2EETnPFT_RKS3_EXadL_ZNS_16gelu_tanh_kernelIfEES3_S5_EETnPFT0_RKS9_EXadL_ZNS_23packed_gelu_tanh_kernelIS2_EES3_S5_EELb1ELb0ELb0ELb0EEEvPS3_PS4_if
    .private_segment_fixed_size: 0
    .sgpr_count:     18
    .sgpr_spill_count: 0
    .symbol:         _ZN4vllm18act_and_mul_kernelIf15HIP_vector_typeIfLj2EETnPFT_RKS3_EXadL_ZNS_16gelu_tanh_kernelIfEES3_S5_EETnPFT0_RKS9_EXadL_ZNS_23packed_gelu_tanh_kernelIS2_EES3_S5_EELb1ELb0ELb0ELb0EEEvPS3_PS4_if.kd
    .uniform_work_group_size: 1
    .uses_dynamic_stack: false
    .vgpr_count:     11
    .vgpr_spill_count: 0
    .wavefront_size: 32
    .workgroup_processor_mode: 1
  - .args:
      - .actual_access:  write_only
        .address_space:  global
        .offset:         0
        .size:           8
        .value_kind:     global_buffer
      - .actual_access:  read_only
        .address_space:  global
        .offset:         8
        .size:           8
        .value_kind:     global_buffer
      - .offset:         16
        .size:           4
        .value_kind:     by_value
      - .offset:         20
        .size:           4
        .value_kind:     by_value
      - .offset:         24
        .size:           4
        .value_kind:     hidden_block_count_x
      - .offset:         28
        .size:           4
        .value_kind:     hidden_block_count_y
      - .offset:         32
        .size:           4
        .value_kind:     hidden_block_count_z
      - .offset:         36
        .size:           2
        .value_kind:     hidden_group_size_x
      - .offset:         38
        .size:           2
        .value_kind:     hidden_group_size_y
      - .offset:         40
        .size:           2
        .value_kind:     hidden_group_size_z
      - .offset:         42
        .size:           2
        .value_kind:     hidden_remainder_x
      - .offset:         44
        .size:           2
        .value_kind:     hidden_remainder_y
      - .offset:         46
        .size:           2
        .value_kind:     hidden_remainder_z
      - .offset:         64
        .size:           8
        .value_kind:     hidden_global_offset_x
      - .offset:         72
        .size:           8
        .value_kind:     hidden_global_offset_y
      - .offset:         80
        .size:           8
        .value_kind:     hidden_global_offset_z
      - .offset:         88
        .size:           2
        .value_kind:     hidden_grid_dims
    .group_segment_fixed_size: 0
    .kernarg_segment_align: 8
    .kernarg_segment_size: 280
    .language:       OpenCL C
    .language_version:
      - 2
      - 0
    .max_flat_workgroup_size: 1024
    .name:           _ZN4vllm18act_and_mul_kernelIN3c104HalfE7__half2TnPFT_RKS4_EXadL_ZNS_16gelu_tanh_kernelIS2_EES4_S6_EETnPFT0_RKSA_EXadL_ZNS_23packed_gelu_tanh_kernelIS3_EES4_S6_EELb1ELb0ELb0ELb0EEEvPS4_PS5_if
    .private_segment_fixed_size: 0
    .sgpr_count:     18
    .sgpr_spill_count: 0
    .symbol:         _ZN4vllm18act_and_mul_kernelIN3c104HalfE7__half2TnPFT_RKS4_EXadL_ZNS_16gelu_tanh_kernelIS2_EES4_S6_EETnPFT0_RKSA_EXadL_ZNS_23packed_gelu_tanh_kernelIS3_EES4_S6_EELb1ELb0ELb0ELb0EEEvPS4_PS5_if.kd
    .uniform_work_group_size: 1
    .uses_dynamic_stack: false
    .vgpr_count:     11
    .vgpr_spill_count: 0
    .wavefront_size: 32
    .workgroup_processor_mode: 1
  - .args:
      - .actual_access:  write_only
        .address_space:  global
        .offset:         0
        .size:           8
        .value_kind:     global_buffer
      - .actual_access:  read_only
        .address_space:  global
        .offset:         8
        .size:           8
        .value_kind:     global_buffer
      - .offset:         16
        .size:           4
        .value_kind:     by_value
      - .offset:         20
        .size:           4
        .value_kind:     by_value
      - .offset:         24
        .size:           4
        .value_kind:     hidden_block_count_x
      - .offset:         28
        .size:           4
        .value_kind:     hidden_block_count_y
      - .offset:         32
        .size:           4
        .value_kind:     hidden_block_count_z
      - .offset:         36
        .size:           2
        .value_kind:     hidden_group_size_x
      - .offset:         38
        .size:           2
        .value_kind:     hidden_group_size_y
      - .offset:         40
        .size:           2
        .value_kind:     hidden_group_size_z
      - .offset:         42
        .size:           2
        .value_kind:     hidden_remainder_x
      - .offset:         44
        .size:           2
        .value_kind:     hidden_remainder_y
      - .offset:         46
        .size:           2
        .value_kind:     hidden_remainder_z
      - .offset:         64
        .size:           8
        .value_kind:     hidden_global_offset_x
      - .offset:         72
        .size:           8
        .value_kind:     hidden_global_offset_y
      - .offset:         80
        .size:           8
        .value_kind:     hidden_global_offset_z
      - .offset:         88
        .size:           2
        .value_kind:     hidden_grid_dims
    .group_segment_fixed_size: 0
    .kernarg_segment_align: 8
    .kernarg_segment_size: 280
    .language:       OpenCL C
    .language_version:
      - 2
      - 0
    .max_flat_workgroup_size: 1024
    .name:           _ZN4vllm18act_and_mul_kernelIN3c108BFloat16E15__hip_bfloat162TnPFT_RKS4_EXadL_ZNS_16gelu_tanh_kernelIS2_EES4_S6_EETnPFT0_RKSA_EXadL_ZNS_23packed_gelu_tanh_kernelIS3_EES4_S6_EELb1ELb0ELb0ELb0EEEvPS4_PS5_if
    .private_segment_fixed_size: 0
    .sgpr_count:     18
    .sgpr_spill_count: 0
    .symbol:         _ZN4vllm18act_and_mul_kernelIN3c108BFloat16E15__hip_bfloat162TnPFT_RKS4_EXadL_ZNS_16gelu_tanh_kernelIS2_EES4_S6_EETnPFT0_RKSA_EXadL_ZNS_23packed_gelu_tanh_kernelIS3_EES4_S6_EELb1ELb0ELb0ELb0EEEvPS4_PS5_if.kd
    .uniform_work_group_size: 1
    .uses_dynamic_stack: false
    .vgpr_count:     11
    .vgpr_spill_count: 0
    .wavefront_size: 32
    .workgroup_processor_mode: 1
  - .args:
      - .actual_access:  read_only
        .address_space:  global
        .offset:         0
        .size:           8
        .value_kind:     global_buffer
      - .actual_access:  read_only
        .address_space:  global
        .offset:         8
        .size:           8
        .value_kind:     global_buffer
      - .offset:         16
        .size:           4
        .value_kind:     by_value
      - .offset:         20
        .size:           4
        .value_kind:     by_value
      - .offset:         24
        .size:           4
        .value_kind:     hidden_block_count_x
      - .offset:         28
        .size:           4
        .value_kind:     hidden_block_count_y
      - .offset:         32
        .size:           4
        .value_kind:     hidden_block_count_z
      - .offset:         36
        .size:           2
        .value_kind:     hidden_group_size_x
      - .offset:         38
        .size:           2
        .value_kind:     hidden_group_size_y
      - .offset:         40
        .size:           2
        .value_kind:     hidden_group_size_z
      - .offset:         42
        .size:           2
        .value_kind:     hidden_remainder_x
      - .offset:         44
        .size:           2
        .value_kind:     hidden_remainder_y
      - .offset:         46
        .size:           2
        .value_kind:     hidden_remainder_z
      - .offset:         64
        .size:           8
        .value_kind:     hidden_global_offset_x
      - .offset:         72
        .size:           8
        .value_kind:     hidden_global_offset_y
      - .offset:         80
        .size:           8
        .value_kind:     hidden_global_offset_z
      - .offset:         88
        .size:           2
        .value_kind:     hidden_grid_dims
      - .offset:         104
        .size:           8
        .value_kind:     hidden_hostcall_buffer
    .group_segment_fixed_size: 0
    .kernarg_segment_align: 8
    .kernarg_segment_size: 280
    .language:       OpenCL C
    .language_version:
      - 2
      - 0
    .max_flat_workgroup_size: 1024
    .name:           _ZN4vllm29act_and_mul_kernel_with_paramIf15HIP_vector_typeIfLj2EETnPFT_RKS3_fEXadL_ZNS_14fatrelu_kernelIfEES3_S5_fEETnPFT0_RKS9_fEXadL_ZNS_21packed_fatrelu_kernelIS2_EES3_S5_fEELb1ELb1EEEvPS3_PS4_if
    .private_segment_fixed_size: 64
    .sgpr_count:     36
    .sgpr_spill_count: 0
    .symbol:         _ZN4vllm29act_and_mul_kernel_with_paramIf15HIP_vector_typeIfLj2EETnPFT_RKS3_fEXadL_ZNS_14fatrelu_kernelIfEES3_S5_fEETnPFT0_RKS9_fEXadL_ZNS_21packed_fatrelu_kernelIS2_EES3_S5_fEELb1ELb1EEEvPS3_PS4_if.kd
    .uniform_work_group_size: 1
    .uses_dynamic_stack: false
    .vgpr_count:     51
    .vgpr_spill_count: 0
    .wavefront_size: 32
    .workgroup_processor_mode: 1
  - .args:
      - .actual_access:  read_only
        .address_space:  global
        .offset:         0
        .size:           8
        .value_kind:     global_buffer
      - .actual_access:  read_only
        .address_space:  global
        .offset:         8
        .size:           8
        .value_kind:     global_buffer
      - .offset:         16
        .size:           4
        .value_kind:     by_value
      - .offset:         20
        .size:           4
        .value_kind:     by_value
      - .offset:         24
        .size:           4
        .value_kind:     hidden_block_count_x
      - .offset:         28
        .size:           4
        .value_kind:     hidden_block_count_y
      - .offset:         32
        .size:           4
        .value_kind:     hidden_block_count_z
      - .offset:         36
        .size:           2
        .value_kind:     hidden_group_size_x
      - .offset:         38
        .size:           2
        .value_kind:     hidden_group_size_y
      - .offset:         40
        .size:           2
        .value_kind:     hidden_group_size_z
      - .offset:         42
        .size:           2
        .value_kind:     hidden_remainder_x
      - .offset:         44
        .size:           2
        .value_kind:     hidden_remainder_y
      - .offset:         46
        .size:           2
        .value_kind:     hidden_remainder_z
      - .offset:         64
        .size:           8
        .value_kind:     hidden_global_offset_x
      - .offset:         72
        .size:           8
        .value_kind:     hidden_global_offset_y
      - .offset:         80
        .size:           8
        .value_kind:     hidden_global_offset_z
      - .offset:         88
        .size:           2
        .value_kind:     hidden_grid_dims
      - .offset:         104
        .size:           8
        .value_kind:     hidden_hostcall_buffer
    .group_segment_fixed_size: 0
    .kernarg_segment_align: 8
    .kernarg_segment_size: 280
    .language:       OpenCL C
    .language_version:
      - 2
      - 0
    .max_flat_workgroup_size: 1024
    .name:           _ZN4vllm29act_and_mul_kernel_with_paramIN3c104HalfE7__half2TnPFT_RKS4_fEXadL_ZNS_14fatrelu_kernelIS2_EES4_S6_fEETnPFT0_RKSA_fEXadL_ZNS_21packed_fatrelu_kernelIS3_EES4_S6_fEELb1ELb1EEEvPS4_PS5_if
    .private_segment_fixed_size: 64
    .sgpr_count:     36
    .sgpr_spill_count: 0
    .symbol:         _ZN4vllm29act_and_mul_kernel_with_paramIN3c104HalfE7__half2TnPFT_RKS4_fEXadL_ZNS_14fatrelu_kernelIS2_EES4_S6_fEETnPFT0_RKSA_fEXadL_ZNS_21packed_fatrelu_kernelIS3_EES4_S6_fEELb1ELb1EEEvPS4_PS5_if.kd
    .uniform_work_group_size: 1
    .uses_dynamic_stack: false
    .vgpr_count:     51
    .vgpr_spill_count: 0
    .wavefront_size: 32
    .workgroup_processor_mode: 1
  - .args:
      - .actual_access:  read_only
        .address_space:  global
        .offset:         0
        .size:           8
        .value_kind:     global_buffer
      - .actual_access:  read_only
        .address_space:  global
        .offset:         8
        .size:           8
        .value_kind:     global_buffer
      - .offset:         16
        .size:           4
        .value_kind:     by_value
      - .offset:         20
        .size:           4
        .value_kind:     by_value
      - .offset:         24
        .size:           4
        .value_kind:     hidden_block_count_x
      - .offset:         28
        .size:           4
        .value_kind:     hidden_block_count_y
      - .offset:         32
        .size:           4
        .value_kind:     hidden_block_count_z
      - .offset:         36
        .size:           2
        .value_kind:     hidden_group_size_x
      - .offset:         38
        .size:           2
        .value_kind:     hidden_group_size_y
      - .offset:         40
        .size:           2
        .value_kind:     hidden_group_size_z
      - .offset:         42
        .size:           2
        .value_kind:     hidden_remainder_x
      - .offset:         44
        .size:           2
        .value_kind:     hidden_remainder_y
      - .offset:         46
        .size:           2
        .value_kind:     hidden_remainder_z
      - .offset:         64
        .size:           8
        .value_kind:     hidden_global_offset_x
      - .offset:         72
        .size:           8
        .value_kind:     hidden_global_offset_y
      - .offset:         80
        .size:           8
        .value_kind:     hidden_global_offset_z
      - .offset:         88
        .size:           2
        .value_kind:     hidden_grid_dims
      - .offset:         104
        .size:           8
        .value_kind:     hidden_hostcall_buffer
    .group_segment_fixed_size: 0
    .kernarg_segment_align: 8
    .kernarg_segment_size: 280
    .language:       OpenCL C
    .language_version:
      - 2
      - 0
    .max_flat_workgroup_size: 1024
    .name:           _ZN4vllm29act_and_mul_kernel_with_paramIN3c108BFloat16E15__hip_bfloat162TnPFT_RKS4_fEXadL_ZNS_14fatrelu_kernelIS2_EES4_S6_fEETnPFT0_RKSA_fEXadL_ZNS_21packed_fatrelu_kernelIS3_EES4_S6_fEELb1ELb1EEEvPS4_PS5_if
    .private_segment_fixed_size: 64
    .sgpr_count:     36
    .sgpr_spill_count: 0
    .symbol:         _ZN4vllm29act_and_mul_kernel_with_paramIN3c108BFloat16E15__hip_bfloat162TnPFT_RKS4_fEXadL_ZNS_14fatrelu_kernelIS2_EES4_S6_fEETnPFT0_RKSA_fEXadL_ZNS_21packed_fatrelu_kernelIS3_EES4_S6_fEELb1ELb1EEEvPS4_PS5_if.kd
    .uniform_work_group_size: 1
    .uses_dynamic_stack: false
    .vgpr_count:     51
    .vgpr_spill_count: 0
    .wavefront_size: 32
    .workgroup_processor_mode: 1
  - .args:
      - .actual_access:  write_only
        .address_space:  global
        .offset:         0
        .size:           8
        .value_kind:     global_buffer
      - .actual_access:  read_only
        .address_space:  global
        .offset:         8
        .size:           8
        .value_kind:     global_buffer
      - .offset:         16
        .size:           4
        .value_kind:     by_value
      - .offset:         20
        .size:           4
        .value_kind:     by_value
      - .offset:         24
        .size:           4
        .value_kind:     hidden_block_count_x
      - .offset:         28
        .size:           4
        .value_kind:     hidden_block_count_y
      - .offset:         32
        .size:           4
        .value_kind:     hidden_block_count_z
      - .offset:         36
        .size:           2
        .value_kind:     hidden_group_size_x
      - .offset:         38
        .size:           2
        .value_kind:     hidden_group_size_y
      - .offset:         40
        .size:           2
        .value_kind:     hidden_group_size_z
      - .offset:         42
        .size:           2
        .value_kind:     hidden_remainder_x
      - .offset:         44
        .size:           2
        .value_kind:     hidden_remainder_y
      - .offset:         46
        .size:           2
        .value_kind:     hidden_remainder_z
      - .offset:         64
        .size:           8
        .value_kind:     hidden_global_offset_x
      - .offset:         72
        .size:           8
        .value_kind:     hidden_global_offset_y
      - .offset:         80
        .size:           8
        .value_kind:     hidden_global_offset_z
      - .offset:         88
        .size:           2
        .value_kind:     hidden_grid_dims
    .group_segment_fixed_size: 0
    .kernarg_segment_align: 8
    .kernarg_segment_size: 280
    .language:       OpenCL C
    .language_version:
      - 2
      - 0
    .max_flat_workgroup_size: 1024
    .name:           _ZN4vllm29act_and_mul_kernel_with_paramIf15HIP_vector_typeIfLj2EETnPFT_RKS3_fEXadL_ZNS_14fatrelu_kernelIfEES3_S5_fEETnPFT0_RKS9_fEXadL_ZNS_21packed_fatrelu_kernelIS2_EES3_S5_fEELb1ELb0EEEvPS3_PS4_if
    .private_segment_fixed_size: 0
    .sgpr_count:     18
    .sgpr_spill_count: 0
    .symbol:         _ZN4vllm29act_and_mul_kernel_with_paramIf15HIP_vector_typeIfLj2EETnPFT_RKS3_fEXadL_ZNS_14fatrelu_kernelIfEES3_S5_fEETnPFT0_RKS9_fEXadL_ZNS_21packed_fatrelu_kernelIS2_EES3_S5_fEELb1ELb0EEEvPS3_PS4_if.kd
    .uniform_work_group_size: 1
    .uses_dynamic_stack: false
    .vgpr_count:     17
    .vgpr_spill_count: 0
    .wavefront_size: 32
    .workgroup_processor_mode: 1
  - .args:
      - .actual_access:  write_only
        .address_space:  global
        .offset:         0
        .size:           8
        .value_kind:     global_buffer
      - .actual_access:  read_only
        .address_space:  global
        .offset:         8
        .size:           8
        .value_kind:     global_buffer
      - .offset:         16
        .size:           4
        .value_kind:     by_value
      - .offset:         20
        .size:           4
        .value_kind:     by_value
      - .offset:         24
        .size:           4
        .value_kind:     hidden_block_count_x
      - .offset:         28
        .size:           4
        .value_kind:     hidden_block_count_y
      - .offset:         32
        .size:           4
        .value_kind:     hidden_block_count_z
      - .offset:         36
        .size:           2
        .value_kind:     hidden_group_size_x
      - .offset:         38
        .size:           2
        .value_kind:     hidden_group_size_y
      - .offset:         40
        .size:           2
        .value_kind:     hidden_group_size_z
      - .offset:         42
        .size:           2
        .value_kind:     hidden_remainder_x
      - .offset:         44
        .size:           2
        .value_kind:     hidden_remainder_y
      - .offset:         46
        .size:           2
        .value_kind:     hidden_remainder_z
      - .offset:         64
        .size:           8
        .value_kind:     hidden_global_offset_x
      - .offset:         72
        .size:           8
        .value_kind:     hidden_global_offset_y
      - .offset:         80
        .size:           8
        .value_kind:     hidden_global_offset_z
      - .offset:         88
        .size:           2
        .value_kind:     hidden_grid_dims
    .group_segment_fixed_size: 0
    .kernarg_segment_align: 8
    .kernarg_segment_size: 280
    .language:       OpenCL C
    .language_version:
      - 2
      - 0
    .max_flat_workgroup_size: 1024
    .name:           _ZN4vllm29act_and_mul_kernel_with_paramIN3c104HalfE7__half2TnPFT_RKS4_fEXadL_ZNS_14fatrelu_kernelIS2_EES4_S6_fEETnPFT0_RKSA_fEXadL_ZNS_21packed_fatrelu_kernelIS3_EES4_S6_fEELb1ELb0EEEvPS4_PS5_if
    .private_segment_fixed_size: 0
    .sgpr_count:     18
    .sgpr_spill_count: 0
    .symbol:         _ZN4vllm29act_and_mul_kernel_with_paramIN3c104HalfE7__half2TnPFT_RKS4_fEXadL_ZNS_14fatrelu_kernelIS2_EES4_S6_fEETnPFT0_RKSA_fEXadL_ZNS_21packed_fatrelu_kernelIS3_EES4_S6_fEELb1ELb0EEEvPS4_PS5_if.kd
    .uniform_work_group_size: 1
    .uses_dynamic_stack: false
    .vgpr_count:     26
    .vgpr_spill_count: 0
    .wavefront_size: 32
    .workgroup_processor_mode: 1
  - .args:
      - .actual_access:  write_only
        .address_space:  global
        .offset:         0
        .size:           8
        .value_kind:     global_buffer
      - .actual_access:  read_only
        .address_space:  global
        .offset:         8
        .size:           8
        .value_kind:     global_buffer
      - .offset:         16
        .size:           4
        .value_kind:     by_value
      - .offset:         20
        .size:           4
        .value_kind:     by_value
      - .offset:         24
        .size:           4
        .value_kind:     hidden_block_count_x
      - .offset:         28
        .size:           4
        .value_kind:     hidden_block_count_y
      - .offset:         32
        .size:           4
        .value_kind:     hidden_block_count_z
      - .offset:         36
        .size:           2
        .value_kind:     hidden_group_size_x
      - .offset:         38
        .size:           2
        .value_kind:     hidden_group_size_y
      - .offset:         40
        .size:           2
        .value_kind:     hidden_group_size_z
      - .offset:         42
        .size:           2
        .value_kind:     hidden_remainder_x
      - .offset:         44
        .size:           2
        .value_kind:     hidden_remainder_y
      - .offset:         46
        .size:           2
        .value_kind:     hidden_remainder_z
      - .offset:         64
        .size:           8
        .value_kind:     hidden_global_offset_x
      - .offset:         72
        .size:           8
        .value_kind:     hidden_global_offset_y
      - .offset:         80
        .size:           8
        .value_kind:     hidden_global_offset_z
      - .offset:         88
        .size:           2
        .value_kind:     hidden_grid_dims
    .group_segment_fixed_size: 0
    .kernarg_segment_align: 8
    .kernarg_segment_size: 280
    .language:       OpenCL C
    .language_version:
      - 2
      - 0
    .max_flat_workgroup_size: 1024
    .name:           _ZN4vllm29act_and_mul_kernel_with_paramIN3c108BFloat16E15__hip_bfloat162TnPFT_RKS4_fEXadL_ZNS_14fatrelu_kernelIS2_EES4_S6_fEETnPFT0_RKSA_fEXadL_ZNS_21packed_fatrelu_kernelIS3_EES4_S6_fEELb1ELb0EEEvPS4_PS5_if
    .private_segment_fixed_size: 0
    .sgpr_count:     18
    .sgpr_spill_count: 0
    .symbol:         _ZN4vllm29act_and_mul_kernel_with_paramIN3c108BFloat16E15__hip_bfloat162TnPFT_RKS4_fEXadL_ZNS_14fatrelu_kernelIS2_EES4_S6_fEETnPFT0_RKSA_fEXadL_ZNS_21packed_fatrelu_kernelIS3_EES4_S6_fEELb1ELb0EEEvPS4_PS5_if.kd
    .uniform_work_group_size: 1
    .uses_dynamic_stack: false
    .vgpr_count:     18
    .vgpr_spill_count: 0
    .wavefront_size: 32
    .workgroup_processor_mode: 1
  - .args:
      - .actual_access:  write_only
        .address_space:  global
        .offset:         0
        .size:           8
        .value_kind:     global_buffer
      - .actual_access:  read_only
        .address_space:  global
        .offset:         8
        .size:           8
        .value_kind:     global_buffer
      - .offset:         16
        .size:           4
        .value_kind:     by_value
      - .offset:         20
        .size:           4
        .value_kind:     by_value
      - .offset:         24
        .size:           4
        .value_kind:     hidden_block_count_x
      - .offset:         28
        .size:           4
        .value_kind:     hidden_block_count_y
      - .offset:         32
        .size:           4
        .value_kind:     hidden_block_count_z
      - .offset:         36
        .size:           2
        .value_kind:     hidden_group_size_x
      - .offset:         38
        .size:           2
        .value_kind:     hidden_group_size_y
      - .offset:         40
        .size:           2
        .value_kind:     hidden_group_size_z
      - .offset:         42
        .size:           2
        .value_kind:     hidden_remainder_x
      - .offset:         44
        .size:           2
        .value_kind:     hidden_remainder_y
      - .offset:         46
        .size:           2
        .value_kind:     hidden_remainder_z
      - .offset:         64
        .size:           8
        .value_kind:     hidden_global_offset_x
      - .offset:         72
        .size:           8
        .value_kind:     hidden_global_offset_y
      - .offset:         80
        .size:           8
        .value_kind:     hidden_global_offset_z
      - .offset:         88
        .size:           2
        .value_kind:     hidden_grid_dims
    .group_segment_fixed_size: 0
    .kernarg_segment_align: 8
    .kernarg_segment_size: 280
    .language:       OpenCL C
    .language_version:
      - 2
      - 0
    .max_flat_workgroup_size: 1024
    .name:           _ZN4vllm29act_and_mul_kernel_with_paramIf15HIP_vector_typeIfLj2EETnPFT_RKS3_fEXadL_ZNS_14fatrelu_kernelIfEES3_S5_fEETnPFT0_RKS9_fEXadL_ZNS_21packed_fatrelu_kernelIS2_EES3_S5_fEELb0ELb0EEEvPS3_PS4_if
    .private_segment_fixed_size: 0
    .sgpr_count:     22
    .sgpr_spill_count: 0
    .symbol:         _ZN4vllm29act_and_mul_kernel_with_paramIf15HIP_vector_typeIfLj2EETnPFT_RKS3_fEXadL_ZNS_14fatrelu_kernelIfEES3_S5_fEETnPFT0_RKS9_fEXadL_ZNS_21packed_fatrelu_kernelIS2_EES3_S5_fEELb0ELb0EEEvPS3_PS4_if.kd
    .uniform_work_group_size: 1
    .uses_dynamic_stack: false
    .vgpr_count:     9
    .vgpr_spill_count: 0
    .wavefront_size: 32
    .workgroup_processor_mode: 1
  - .args:
      - .actual_access:  write_only
        .address_space:  global
        .offset:         0
        .size:           8
        .value_kind:     global_buffer
      - .actual_access:  read_only
        .address_space:  global
        .offset:         8
        .size:           8
        .value_kind:     global_buffer
      - .offset:         16
        .size:           4
        .value_kind:     by_value
      - .offset:         20
        .size:           4
        .value_kind:     by_value
      - .offset:         24
        .size:           4
        .value_kind:     hidden_block_count_x
      - .offset:         28
        .size:           4
        .value_kind:     hidden_block_count_y
      - .offset:         32
        .size:           4
        .value_kind:     hidden_block_count_z
      - .offset:         36
        .size:           2
        .value_kind:     hidden_group_size_x
      - .offset:         38
        .size:           2
        .value_kind:     hidden_group_size_y
      - .offset:         40
        .size:           2
        .value_kind:     hidden_group_size_z
      - .offset:         42
        .size:           2
        .value_kind:     hidden_remainder_x
      - .offset:         44
        .size:           2
        .value_kind:     hidden_remainder_y
      - .offset:         46
        .size:           2
        .value_kind:     hidden_remainder_z
      - .offset:         64
        .size:           8
        .value_kind:     hidden_global_offset_x
      - .offset:         72
        .size:           8
        .value_kind:     hidden_global_offset_y
      - .offset:         80
        .size:           8
        .value_kind:     hidden_global_offset_z
      - .offset:         88
        .size:           2
        .value_kind:     hidden_grid_dims
    .group_segment_fixed_size: 0
    .kernarg_segment_align: 8
    .kernarg_segment_size: 280
    .language:       OpenCL C
    .language_version:
      - 2
      - 0
    .max_flat_workgroup_size: 1024
    .name:           _ZN4vllm29act_and_mul_kernel_with_paramIN3c104HalfE7__half2TnPFT_RKS4_fEXadL_ZNS_14fatrelu_kernelIS2_EES4_S6_fEETnPFT0_RKSA_fEXadL_ZNS_21packed_fatrelu_kernelIS3_EES4_S6_fEELb0ELb0EEEvPS4_PS5_if
    .private_segment_fixed_size: 0
    .sgpr_count:     22
    .sgpr_spill_count: 0
    .symbol:         _ZN4vllm29act_and_mul_kernel_with_paramIN3c104HalfE7__half2TnPFT_RKS4_fEXadL_ZNS_14fatrelu_kernelIS2_EES4_S6_fEETnPFT0_RKSA_fEXadL_ZNS_21packed_fatrelu_kernelIS3_EES4_S6_fEELb0ELb0EEEvPS4_PS5_if.kd
    .uniform_work_group_size: 1
    .uses_dynamic_stack: false
    .vgpr_count:     19
    .vgpr_spill_count: 0
    .wavefront_size: 32
    .workgroup_processor_mode: 1
  - .args:
      - .actual_access:  write_only
        .address_space:  global
        .offset:         0
        .size:           8
        .value_kind:     global_buffer
      - .actual_access:  read_only
        .address_space:  global
        .offset:         8
        .size:           8
        .value_kind:     global_buffer
      - .offset:         16
        .size:           4
        .value_kind:     by_value
      - .offset:         20
        .size:           4
        .value_kind:     by_value
      - .offset:         24
        .size:           4
        .value_kind:     hidden_block_count_x
      - .offset:         28
        .size:           4
        .value_kind:     hidden_block_count_y
      - .offset:         32
        .size:           4
        .value_kind:     hidden_block_count_z
      - .offset:         36
        .size:           2
        .value_kind:     hidden_group_size_x
      - .offset:         38
        .size:           2
        .value_kind:     hidden_group_size_y
      - .offset:         40
        .size:           2
        .value_kind:     hidden_group_size_z
      - .offset:         42
        .size:           2
        .value_kind:     hidden_remainder_x
      - .offset:         44
        .size:           2
        .value_kind:     hidden_remainder_y
      - .offset:         46
        .size:           2
        .value_kind:     hidden_remainder_z
      - .offset:         64
        .size:           8
        .value_kind:     hidden_global_offset_x
      - .offset:         72
        .size:           8
        .value_kind:     hidden_global_offset_y
      - .offset:         80
        .size:           8
        .value_kind:     hidden_global_offset_z
      - .offset:         88
        .size:           2
        .value_kind:     hidden_grid_dims
    .group_segment_fixed_size: 0
    .kernarg_segment_align: 8
    .kernarg_segment_size: 280
    .language:       OpenCL C
    .language_version:
      - 2
      - 0
    .max_flat_workgroup_size: 1024
    .name:           _ZN4vllm29act_and_mul_kernel_with_paramIN3c108BFloat16E15__hip_bfloat162TnPFT_RKS4_fEXadL_ZNS_14fatrelu_kernelIS2_EES4_S6_fEETnPFT0_RKSA_fEXadL_ZNS_21packed_fatrelu_kernelIS3_EES4_S6_fEELb0ELb0EEEvPS4_PS5_if
    .private_segment_fixed_size: 0
    .sgpr_count:     22
    .sgpr_spill_count: 0
    .symbol:         _ZN4vllm29act_and_mul_kernel_with_paramIN3c108BFloat16E15__hip_bfloat162TnPFT_RKS4_fEXadL_ZNS_14fatrelu_kernelIS2_EES4_S6_fEETnPFT0_RKSA_fEXadL_ZNS_21packed_fatrelu_kernelIS3_EES4_S6_fEELb0ELb0EEEvPS4_PS5_if.kd
    .uniform_work_group_size: 1
    .uses_dynamic_stack: false
    .vgpr_count:     20
    .vgpr_spill_count: 0
    .wavefront_size: 32
    .workgroup_processor_mode: 1
  - .args:
      - .address_space:  global
        .offset:         0
        .size:           8
        .value_kind:     global_buffer
      - .address_space:  global
        .offset:         8
        .size:           8
        .value_kind:     global_buffer
      - .offset:         16
        .size:           4
        .value_kind:     by_value
      - .offset:         20
        .size:           4
        .value_kind:     by_value
      - .offset:         24
        .size:           4
        .value_kind:     by_value
      - .offset:         32
        .size:           4
        .value_kind:     hidden_block_count_x
      - .offset:         36
        .size:           4
        .value_kind:     hidden_block_count_y
      - .offset:         40
        .size:           4
        .value_kind:     hidden_block_count_z
      - .offset:         44
        .size:           2
        .value_kind:     hidden_group_size_x
      - .offset:         46
        .size:           2
        .value_kind:     hidden_group_size_y
      - .offset:         48
        .size:           2
        .value_kind:     hidden_group_size_z
      - .offset:         50
        .size:           2
        .value_kind:     hidden_remainder_x
      - .offset:         52
        .size:           2
        .value_kind:     hidden_remainder_y
      - .offset:         54
        .size:           2
        .value_kind:     hidden_remainder_z
      - .offset:         72
        .size:           8
        .value_kind:     hidden_global_offset_x
      - .offset:         80
        .size:           8
        .value_kind:     hidden_global_offset_y
      - .offset:         88
        .size:           8
        .value_kind:     hidden_global_offset_z
      - .offset:         96
        .size:           2
        .value_kind:     hidden_grid_dims
    .group_segment_fixed_size: 0
    .kernarg_segment_align: 8
    .kernarg_segment_size: 288
    .language:       OpenCL C
    .language_version:
      - 2
      - 0
    .max_flat_workgroup_size: 1024
    .name:           _ZN4vllm24swigluoai_and_mul_kernelIfTnPFT_RKS1_S3_ffEXadL_ZNS_17swigluoai_and_mulIfEES1_S3_S3_ffEEEEvPS1_PS2_iff
    .private_segment_fixed_size: 0
    .sgpr_count:     27
    .sgpr_spill_count: 0
    .symbol:         _ZN4vllm24swigluoai_and_mul_kernelIfTnPFT_RKS1_S3_ffEXadL_ZNS_17swigluoai_and_mulIfEES1_S3_S3_ffEEEEvPS1_PS2_iff.kd
    .uniform_work_group_size: 1
    .uses_dynamic_stack: false
    .vgpr_count:     22
    .vgpr_spill_count: 0
    .wavefront_size: 32
    .workgroup_processor_mode: 1
  - .args:
      - .address_space:  global
        .offset:         0
        .size:           8
        .value_kind:     global_buffer
      - .address_space:  global
        .offset:         8
        .size:           8
        .value_kind:     global_buffer
      - .offset:         16
        .size:           4
        .value_kind:     by_value
      - .offset:         20
        .size:           4
        .value_kind:     by_value
      - .offset:         24
        .size:           4
        .value_kind:     by_value
      - .offset:         32
        .size:           4
        .value_kind:     hidden_block_count_x
      - .offset:         36
        .size:           4
        .value_kind:     hidden_block_count_y
      - .offset:         40
        .size:           4
        .value_kind:     hidden_block_count_z
      - .offset:         44
        .size:           2
        .value_kind:     hidden_group_size_x
      - .offset:         46
        .size:           2
        .value_kind:     hidden_group_size_y
      - .offset:         48
        .size:           2
        .value_kind:     hidden_group_size_z
      - .offset:         50
        .size:           2
        .value_kind:     hidden_remainder_x
      - .offset:         52
        .size:           2
        .value_kind:     hidden_remainder_y
      - .offset:         54
        .size:           2
        .value_kind:     hidden_remainder_z
      - .offset:         72
        .size:           8
        .value_kind:     hidden_global_offset_x
      - .offset:         80
        .size:           8
        .value_kind:     hidden_global_offset_y
      - .offset:         88
        .size:           8
        .value_kind:     hidden_global_offset_z
      - .offset:         96
        .size:           2
        .value_kind:     hidden_grid_dims
    .group_segment_fixed_size: 0
    .kernarg_segment_align: 8
    .kernarg_segment_size: 288
    .language:       OpenCL C
    .language_version:
      - 2
      - 0
    .max_flat_workgroup_size: 1024
    .name:           _ZN4vllm24swigluoai_and_mul_kernelIN3c104HalfETnPFT_RKS3_S5_ffEXadL_ZNS_17swigluoai_and_mulIS2_EES3_S5_S5_ffEEEEvPS3_PS4_iff
    .private_segment_fixed_size: 0
    .sgpr_count:     30
    .sgpr_spill_count: 0
    .symbol:         _ZN4vllm24swigluoai_and_mul_kernelIN3c104HalfETnPFT_RKS3_S5_ffEXadL_ZNS_17swigluoai_and_mulIS2_EES3_S5_S5_ffEEEEvPS3_PS4_iff.kd
    .uniform_work_group_size: 1
    .uses_dynamic_stack: false
    .vgpr_count:     36
    .vgpr_spill_count: 0
    .wavefront_size: 32
    .workgroup_processor_mode: 1
  - .args:
      - .address_space:  global
        .offset:         0
        .size:           8
        .value_kind:     global_buffer
      - .address_space:  global
        .offset:         8
        .size:           8
        .value_kind:     global_buffer
      - .offset:         16
        .size:           4
        .value_kind:     by_value
      - .offset:         20
        .size:           4
        .value_kind:     by_value
      - .offset:         24
        .size:           4
        .value_kind:     by_value
      - .offset:         32
        .size:           4
        .value_kind:     hidden_block_count_x
      - .offset:         36
        .size:           4
        .value_kind:     hidden_block_count_y
      - .offset:         40
        .size:           4
        .value_kind:     hidden_block_count_z
      - .offset:         44
        .size:           2
        .value_kind:     hidden_group_size_x
      - .offset:         46
        .size:           2
        .value_kind:     hidden_group_size_y
      - .offset:         48
        .size:           2
        .value_kind:     hidden_group_size_z
      - .offset:         50
        .size:           2
        .value_kind:     hidden_remainder_x
      - .offset:         52
        .size:           2
        .value_kind:     hidden_remainder_y
      - .offset:         54
        .size:           2
        .value_kind:     hidden_remainder_z
      - .offset:         72
        .size:           8
        .value_kind:     hidden_global_offset_x
      - .offset:         80
        .size:           8
        .value_kind:     hidden_global_offset_y
      - .offset:         88
        .size:           8
        .value_kind:     hidden_global_offset_z
      - .offset:         96
        .size:           2
        .value_kind:     hidden_grid_dims
    .group_segment_fixed_size: 0
    .kernarg_segment_align: 8
    .kernarg_segment_size: 288
    .language:       OpenCL C
    .language_version:
      - 2
      - 0
    .max_flat_workgroup_size: 1024
    .name:           _ZN4vllm24swigluoai_and_mul_kernelIN3c108BFloat16ETnPFT_RKS3_S5_ffEXadL_ZNS_17swigluoai_and_mulIS2_EES3_S5_S5_ffEEEEvPS3_PS4_iff
    .private_segment_fixed_size: 0
    .sgpr_count:     31
    .sgpr_spill_count: 0
    .symbol:         _ZN4vllm24swigluoai_and_mul_kernelIN3c108BFloat16ETnPFT_RKS3_S5_ffEXadL_ZNS_17swigluoai_and_mulIS2_EES3_S5_S5_ffEEEEvPS3_PS4_iff.kd
    .uniform_work_group_size: 1
    .uses_dynamic_stack: false
    .vgpr_count:     36
    .vgpr_spill_count: 0
    .wavefront_size: 32
    .workgroup_processor_mode: 1
  - .args:
      - .actual_access:  read_only
        .address_space:  global
        .offset:         0
        .size:           8
        .value_kind:     global_buffer
      - .actual_access:  read_only
        .address_space:  global
        .offset:         8
        .size:           8
        .value_kind:     global_buffer
      - .offset:         16
        .size:           4
        .value_kind:     by_value
      - .offset:         24
        .size:           4
        .value_kind:     hidden_block_count_x
      - .offset:         28
        .size:           4
        .value_kind:     hidden_block_count_y
      - .offset:         32
        .size:           4
        .value_kind:     hidden_block_count_z
      - .offset:         36
        .size:           2
        .value_kind:     hidden_group_size_x
      - .offset:         38
        .size:           2
        .value_kind:     hidden_group_size_y
      - .offset:         40
        .size:           2
        .value_kind:     hidden_group_size_z
      - .offset:         42
        .size:           2
        .value_kind:     hidden_remainder_x
      - .offset:         44
        .size:           2
        .value_kind:     hidden_remainder_y
      - .offset:         46
        .size:           2
        .value_kind:     hidden_remainder_z
      - .offset:         64
        .size:           8
        .value_kind:     hidden_global_offset_x
      - .offset:         72
        .size:           8
        .value_kind:     hidden_global_offset_y
      - .offset:         80
        .size:           8
        .value_kind:     hidden_global_offset_z
      - .offset:         88
        .size:           2
        .value_kind:     hidden_grid_dims
      - .offset:         104
        .size:           8
        .value_kind:     hidden_hostcall_buffer
    .group_segment_fixed_size: 0
    .kernarg_segment_align: 8
    .kernarg_segment_size: 280
    .language:       OpenCL C
    .language_version:
      - 2
      - 0
    .max_flat_workgroup_size: 1024
    .name:           _ZN4vllm17activation_kernelIfTnPFT_RKS1_EXadL_ZNS_15gelu_new_kernelIfEES1_S3_EELb1ELb1EEEvPS1_PS2_i
    .private_segment_fixed_size: 64
    .sgpr_count:     36
    .sgpr_spill_count: 0
    .symbol:         _ZN4vllm17activation_kernelIfTnPFT_RKS1_EXadL_ZNS_15gelu_new_kernelIfEES1_S3_EELb1ELb1EEEvPS1_PS2_i.kd
    .uniform_work_group_size: 1
    .uses_dynamic_stack: false
    .vgpr_count:     51
    .vgpr_spill_count: 0
    .wavefront_size: 32
    .workgroup_processor_mode: 1
  - .args:
      - .actual_access:  read_only
        .address_space:  global
        .offset:         0
        .size:           8
        .value_kind:     global_buffer
      - .actual_access:  read_only
        .address_space:  global
        .offset:         8
        .size:           8
        .value_kind:     global_buffer
      - .offset:         16
        .size:           4
        .value_kind:     by_value
      - .offset:         24
        .size:           4
        .value_kind:     hidden_block_count_x
      - .offset:         28
        .size:           4
        .value_kind:     hidden_block_count_y
      - .offset:         32
        .size:           4
        .value_kind:     hidden_block_count_z
      - .offset:         36
        .size:           2
        .value_kind:     hidden_group_size_x
      - .offset:         38
        .size:           2
        .value_kind:     hidden_group_size_y
      - .offset:         40
        .size:           2
        .value_kind:     hidden_group_size_z
      - .offset:         42
        .size:           2
        .value_kind:     hidden_remainder_x
      - .offset:         44
        .size:           2
        .value_kind:     hidden_remainder_y
      - .offset:         46
        .size:           2
        .value_kind:     hidden_remainder_z
      - .offset:         64
        .size:           8
        .value_kind:     hidden_global_offset_x
      - .offset:         72
        .size:           8
        .value_kind:     hidden_global_offset_y
      - .offset:         80
        .size:           8
        .value_kind:     hidden_global_offset_z
      - .offset:         88
        .size:           2
        .value_kind:     hidden_grid_dims
      - .offset:         104
        .size:           8
        .value_kind:     hidden_hostcall_buffer
    .group_segment_fixed_size: 0
    .kernarg_segment_align: 8
    .kernarg_segment_size: 280
    .language:       OpenCL C
    .language_version:
      - 2
      - 0
    .max_flat_workgroup_size: 1024
    .name:           _ZN4vllm17activation_kernelIN3c104HalfETnPFT_RKS3_EXadL_ZNS_15gelu_new_kernelIS2_EES3_S5_EELb1ELb1EEEvPS3_PS4_i
    .private_segment_fixed_size: 64
    .sgpr_count:     36
    .sgpr_spill_count: 0
    .symbol:         _ZN4vllm17activation_kernelIN3c104HalfETnPFT_RKS3_EXadL_ZNS_15gelu_new_kernelIS2_EES3_S5_EELb1ELb1EEEvPS3_PS4_i.kd
    .uniform_work_group_size: 1
    .uses_dynamic_stack: false
    .vgpr_count:     51
    .vgpr_spill_count: 0
    .wavefront_size: 32
    .workgroup_processor_mode: 1
  - .args:
      - .actual_access:  read_only
        .address_space:  global
        .offset:         0
        .size:           8
        .value_kind:     global_buffer
      - .actual_access:  read_only
        .address_space:  global
        .offset:         8
        .size:           8
        .value_kind:     global_buffer
      - .offset:         16
        .size:           4
        .value_kind:     by_value
      - .offset:         24
        .size:           4
        .value_kind:     hidden_block_count_x
      - .offset:         28
        .size:           4
        .value_kind:     hidden_block_count_y
      - .offset:         32
        .size:           4
        .value_kind:     hidden_block_count_z
      - .offset:         36
        .size:           2
        .value_kind:     hidden_group_size_x
      - .offset:         38
        .size:           2
        .value_kind:     hidden_group_size_y
      - .offset:         40
        .size:           2
        .value_kind:     hidden_group_size_z
      - .offset:         42
        .size:           2
        .value_kind:     hidden_remainder_x
      - .offset:         44
        .size:           2
        .value_kind:     hidden_remainder_y
      - .offset:         46
        .size:           2
        .value_kind:     hidden_remainder_z
      - .offset:         64
        .size:           8
        .value_kind:     hidden_global_offset_x
      - .offset:         72
        .size:           8
        .value_kind:     hidden_global_offset_y
      - .offset:         80
        .size:           8
        .value_kind:     hidden_global_offset_z
      - .offset:         88
        .size:           2
        .value_kind:     hidden_grid_dims
      - .offset:         104
        .size:           8
        .value_kind:     hidden_hostcall_buffer
    .group_segment_fixed_size: 0
    .kernarg_segment_align: 8
    .kernarg_segment_size: 280
    .language:       OpenCL C
    .language_version:
      - 2
      - 0
    .max_flat_workgroup_size: 1024
    .name:           _ZN4vllm17activation_kernelIN3c108BFloat16ETnPFT_RKS3_EXadL_ZNS_15gelu_new_kernelIS2_EES3_S5_EELb1ELb1EEEvPS3_PS4_i
    .private_segment_fixed_size: 64
    .sgpr_count:     36
    .sgpr_spill_count: 0
    .symbol:         _ZN4vllm17activation_kernelIN3c108BFloat16ETnPFT_RKS3_EXadL_ZNS_15gelu_new_kernelIS2_EES3_S5_EELb1ELb1EEEvPS3_PS4_i.kd
    .uniform_work_group_size: 1
    .uses_dynamic_stack: false
    .vgpr_count:     51
    .vgpr_spill_count: 0
    .wavefront_size: 32
    .workgroup_processor_mode: 1
  - .args:
      - .actual_access:  write_only
        .address_space:  global
        .offset:         0
        .size:           8
        .value_kind:     global_buffer
      - .actual_access:  read_only
        .address_space:  global
        .offset:         8
        .size:           8
        .value_kind:     global_buffer
      - .offset:         16
        .size:           4
        .value_kind:     by_value
      - .offset:         24
        .size:           4
        .value_kind:     hidden_block_count_x
      - .offset:         28
        .size:           4
        .value_kind:     hidden_block_count_y
      - .offset:         32
        .size:           4
        .value_kind:     hidden_block_count_z
      - .offset:         36
        .size:           2
        .value_kind:     hidden_group_size_x
      - .offset:         38
        .size:           2
        .value_kind:     hidden_group_size_y
      - .offset:         40
        .size:           2
        .value_kind:     hidden_group_size_z
      - .offset:         42
        .size:           2
        .value_kind:     hidden_remainder_x
      - .offset:         44
        .size:           2
        .value_kind:     hidden_remainder_y
      - .offset:         46
        .size:           2
        .value_kind:     hidden_remainder_z
      - .offset:         64
        .size:           8
        .value_kind:     hidden_global_offset_x
      - .offset:         72
        .size:           8
        .value_kind:     hidden_global_offset_y
      - .offset:         80
        .size:           8
        .value_kind:     hidden_global_offset_z
      - .offset:         88
        .size:           2
        .value_kind:     hidden_grid_dims
    .group_segment_fixed_size: 0
    .kernarg_segment_align: 8
    .kernarg_segment_size: 280
    .language:       OpenCL C
    .language_version:
      - 2
      - 0
    .max_flat_workgroup_size: 1024
    .name:           _ZN4vllm17activation_kernelIfTnPFT_RKS1_EXadL_ZNS_15gelu_new_kernelIfEES1_S3_EELb1ELb0EEEvPS1_PS2_i
    .private_segment_fixed_size: 0
    .sgpr_count:     18
    .sgpr_spill_count: 0
    .symbol:         _ZN4vllm17activation_kernelIfTnPFT_RKS1_EXadL_ZNS_15gelu_new_kernelIfEES1_S3_EELb1ELb0EEEvPS1_PS2_i.kd
    .uniform_work_group_size: 1
    .uses_dynamic_stack: false
    .vgpr_count:     18
    .vgpr_spill_count: 0
    .wavefront_size: 32
    .workgroup_processor_mode: 1
  - .args:
      - .actual_access:  write_only
        .address_space:  global
        .offset:         0
        .size:           8
        .value_kind:     global_buffer
      - .actual_access:  read_only
        .address_space:  global
        .offset:         8
        .size:           8
        .value_kind:     global_buffer
      - .offset:         16
        .size:           4
        .value_kind:     by_value
      - .offset:         24
        .size:           4
        .value_kind:     hidden_block_count_x
      - .offset:         28
        .size:           4
        .value_kind:     hidden_block_count_y
      - .offset:         32
        .size:           4
        .value_kind:     hidden_block_count_z
      - .offset:         36
        .size:           2
        .value_kind:     hidden_group_size_x
      - .offset:         38
        .size:           2
        .value_kind:     hidden_group_size_y
      - .offset:         40
        .size:           2
        .value_kind:     hidden_group_size_z
      - .offset:         42
        .size:           2
        .value_kind:     hidden_remainder_x
      - .offset:         44
        .size:           2
        .value_kind:     hidden_remainder_y
      - .offset:         46
        .size:           2
        .value_kind:     hidden_remainder_z
      - .offset:         64
        .size:           8
        .value_kind:     hidden_global_offset_x
      - .offset:         72
        .size:           8
        .value_kind:     hidden_global_offset_y
      - .offset:         80
        .size:           8
        .value_kind:     hidden_global_offset_z
      - .offset:         88
        .size:           2
        .value_kind:     hidden_grid_dims
    .group_segment_fixed_size: 0
    .kernarg_segment_align: 8
    .kernarg_segment_size: 280
    .language:       OpenCL C
    .language_version:
      - 2
      - 0
    .max_flat_workgroup_size: 1024
    .name:           _ZN4vllm17activation_kernelIN3c104HalfETnPFT_RKS3_EXadL_ZNS_15gelu_new_kernelIS2_EES3_S5_EELb1ELb0EEEvPS3_PS4_i
    .private_segment_fixed_size: 0
    .sgpr_count:     18
    .sgpr_spill_count: 0
    .symbol:         _ZN4vllm17activation_kernelIN3c104HalfETnPFT_RKS3_EXadL_ZNS_15gelu_new_kernelIS2_EES3_S5_EELb1ELb0EEEvPS3_PS4_i.kd
    .uniform_work_group_size: 1
    .uses_dynamic_stack: false
    .vgpr_count:     32
    .vgpr_spill_count: 0
    .wavefront_size: 32
    .workgroup_processor_mode: 1
  - .args:
      - .actual_access:  write_only
        .address_space:  global
        .offset:         0
        .size:           8
        .value_kind:     global_buffer
      - .actual_access:  read_only
        .address_space:  global
        .offset:         8
        .size:           8
        .value_kind:     global_buffer
      - .offset:         16
        .size:           4
        .value_kind:     by_value
      - .offset:         24
        .size:           4
        .value_kind:     hidden_block_count_x
      - .offset:         28
        .size:           4
        .value_kind:     hidden_block_count_y
      - .offset:         32
        .size:           4
        .value_kind:     hidden_block_count_z
      - .offset:         36
        .size:           2
        .value_kind:     hidden_group_size_x
      - .offset:         38
        .size:           2
        .value_kind:     hidden_group_size_y
      - .offset:         40
        .size:           2
        .value_kind:     hidden_group_size_z
      - .offset:         42
        .size:           2
        .value_kind:     hidden_remainder_x
      - .offset:         44
        .size:           2
        .value_kind:     hidden_remainder_y
      - .offset:         46
        .size:           2
        .value_kind:     hidden_remainder_z
      - .offset:         64
        .size:           8
        .value_kind:     hidden_global_offset_x
      - .offset:         72
        .size:           8
        .value_kind:     hidden_global_offset_y
      - .offset:         80
        .size:           8
        .value_kind:     hidden_global_offset_z
      - .offset:         88
        .size:           2
        .value_kind:     hidden_grid_dims
    .group_segment_fixed_size: 0
    .kernarg_segment_align: 8
    .kernarg_segment_size: 280
    .language:       OpenCL C
    .language_version:
      - 2
      - 0
    .max_flat_workgroup_size: 1024
    .name:           _ZN4vllm17activation_kernelIN3c108BFloat16ETnPFT_RKS3_EXadL_ZNS_15gelu_new_kernelIS2_EES3_S5_EELb1ELb0EEEvPS3_PS4_i
    .private_segment_fixed_size: 0
    .sgpr_count:     18
    .sgpr_spill_count: 0
    .symbol:         _ZN4vllm17activation_kernelIN3c108BFloat16ETnPFT_RKS3_EXadL_ZNS_15gelu_new_kernelIS2_EES3_S5_EELb1ELb0EEEvPS3_PS4_i.kd
    .uniform_work_group_size: 1
    .uses_dynamic_stack: false
    .vgpr_count:     32
    .vgpr_spill_count: 0
    .wavefront_size: 32
    .workgroup_processor_mode: 1
  - .args:
      - .actual_access:  write_only
        .address_space:  global
        .offset:         0
        .size:           8
        .value_kind:     global_buffer
      - .actual_access:  read_only
        .address_space:  global
        .offset:         8
        .size:           8
        .value_kind:     global_buffer
      - .offset:         16
        .size:           4
        .value_kind:     by_value
      - .offset:         24
        .size:           4
        .value_kind:     hidden_block_count_x
      - .offset:         28
        .size:           4
        .value_kind:     hidden_block_count_y
      - .offset:         32
        .size:           4
        .value_kind:     hidden_block_count_z
      - .offset:         36
        .size:           2
        .value_kind:     hidden_group_size_x
      - .offset:         38
        .size:           2
        .value_kind:     hidden_group_size_y
      - .offset:         40
        .size:           2
        .value_kind:     hidden_group_size_z
      - .offset:         42
        .size:           2
        .value_kind:     hidden_remainder_x
      - .offset:         44
        .size:           2
        .value_kind:     hidden_remainder_y
      - .offset:         46
        .size:           2
        .value_kind:     hidden_remainder_z
      - .offset:         64
        .size:           8
        .value_kind:     hidden_global_offset_x
      - .offset:         72
        .size:           8
        .value_kind:     hidden_global_offset_y
      - .offset:         80
        .size:           8
        .value_kind:     hidden_global_offset_z
      - .offset:         88
        .size:           2
        .value_kind:     hidden_grid_dims
    .group_segment_fixed_size: 0
    .kernarg_segment_align: 8
    .kernarg_segment_size: 280
    .language:       OpenCL C
    .language_version:
      - 2
      - 0
    .max_flat_workgroup_size: 1024
    .name:           _ZN4vllm17activation_kernelIfTnPFT_RKS1_EXadL_ZNS_15gelu_new_kernelIfEES1_S3_EELb0ELb0EEEvPS1_PS2_i
    .private_segment_fixed_size: 0
    .sgpr_count:     18
    .sgpr_spill_count: 0
    .symbol:         _ZN4vllm17activation_kernelIfTnPFT_RKS1_EXadL_ZNS_15gelu_new_kernelIfEES1_S3_EELb0ELb0EEEvPS1_PS2_i.kd
    .uniform_work_group_size: 1
    .uses_dynamic_stack: false
    .vgpr_count:     10
    .vgpr_spill_count: 0
    .wavefront_size: 32
    .workgroup_processor_mode: 1
  - .args:
      - .actual_access:  write_only
        .address_space:  global
        .offset:         0
        .size:           8
        .value_kind:     global_buffer
      - .actual_access:  read_only
        .address_space:  global
        .offset:         8
        .size:           8
        .value_kind:     global_buffer
      - .offset:         16
        .size:           4
        .value_kind:     by_value
      - .offset:         24
        .size:           4
        .value_kind:     hidden_block_count_x
      - .offset:         28
        .size:           4
        .value_kind:     hidden_block_count_y
      - .offset:         32
        .size:           4
        .value_kind:     hidden_block_count_z
      - .offset:         36
        .size:           2
        .value_kind:     hidden_group_size_x
      - .offset:         38
        .size:           2
        .value_kind:     hidden_group_size_y
      - .offset:         40
        .size:           2
        .value_kind:     hidden_group_size_z
      - .offset:         42
        .size:           2
        .value_kind:     hidden_remainder_x
      - .offset:         44
        .size:           2
        .value_kind:     hidden_remainder_y
      - .offset:         46
        .size:           2
        .value_kind:     hidden_remainder_z
      - .offset:         64
        .size:           8
        .value_kind:     hidden_global_offset_x
      - .offset:         72
        .size:           8
        .value_kind:     hidden_global_offset_y
      - .offset:         80
        .size:           8
        .value_kind:     hidden_global_offset_z
      - .offset:         88
        .size:           2
        .value_kind:     hidden_grid_dims
    .group_segment_fixed_size: 0
    .kernarg_segment_align: 8
    .kernarg_segment_size: 280
    .language:       OpenCL C
    .language_version:
      - 2
      - 0
    .max_flat_workgroup_size: 1024
    .name:           _ZN4vllm17activation_kernelIN3c104HalfETnPFT_RKS3_EXadL_ZNS_15gelu_new_kernelIS2_EES3_S5_EELb0ELb0EEEvPS3_PS4_i
    .private_segment_fixed_size: 0
    .sgpr_count:     18
    .sgpr_spill_count: 0
    .symbol:         _ZN4vllm17activation_kernelIN3c104HalfETnPFT_RKS3_EXadL_ZNS_15gelu_new_kernelIS2_EES3_S5_EELb0ELb0EEEvPS3_PS4_i.kd
    .uniform_work_group_size: 1
    .uses_dynamic_stack: false
    .vgpr_count:     10
    .vgpr_spill_count: 0
    .wavefront_size: 32
    .workgroup_processor_mode: 1
  - .args:
      - .actual_access:  write_only
        .address_space:  global
        .offset:         0
        .size:           8
        .value_kind:     global_buffer
      - .actual_access:  read_only
        .address_space:  global
        .offset:         8
        .size:           8
        .value_kind:     global_buffer
      - .offset:         16
        .size:           4
        .value_kind:     by_value
      - .offset:         24
        .size:           4
        .value_kind:     hidden_block_count_x
      - .offset:         28
        .size:           4
        .value_kind:     hidden_block_count_y
      - .offset:         32
        .size:           4
        .value_kind:     hidden_block_count_z
      - .offset:         36
        .size:           2
        .value_kind:     hidden_group_size_x
      - .offset:         38
        .size:           2
        .value_kind:     hidden_group_size_y
      - .offset:         40
        .size:           2
        .value_kind:     hidden_group_size_z
      - .offset:         42
        .size:           2
        .value_kind:     hidden_remainder_x
      - .offset:         44
        .size:           2
        .value_kind:     hidden_remainder_y
      - .offset:         46
        .size:           2
        .value_kind:     hidden_remainder_z
      - .offset:         64
        .size:           8
        .value_kind:     hidden_global_offset_x
      - .offset:         72
        .size:           8
        .value_kind:     hidden_global_offset_y
      - .offset:         80
        .size:           8
        .value_kind:     hidden_global_offset_z
      - .offset:         88
        .size:           2
        .value_kind:     hidden_grid_dims
    .group_segment_fixed_size: 0
    .kernarg_segment_align: 8
    .kernarg_segment_size: 280
    .language:       OpenCL C
    .language_version:
      - 2
      - 0
    .max_flat_workgroup_size: 1024
    .name:           _ZN4vllm17activation_kernelIN3c108BFloat16ETnPFT_RKS3_EXadL_ZNS_15gelu_new_kernelIS2_EES3_S5_EELb0ELb0EEEvPS3_PS4_i
    .private_segment_fixed_size: 0
    .sgpr_count:     18
    .sgpr_spill_count: 0
    .symbol:         _ZN4vllm17activation_kernelIN3c108BFloat16ETnPFT_RKS3_EXadL_ZNS_15gelu_new_kernelIS2_EES3_S5_EELb0ELb0EEEvPS3_PS4_i.kd
    .uniform_work_group_size: 1
    .uses_dynamic_stack: false
    .vgpr_count:     10
    .vgpr_spill_count: 0
    .wavefront_size: 32
    .workgroup_processor_mode: 1
  - .args:
      - .actual_access:  read_only
        .address_space:  global
        .offset:         0
        .size:           8
        .value_kind:     global_buffer
      - .actual_access:  read_only
        .address_space:  global
        .offset:         8
        .size:           8
        .value_kind:     global_buffer
      - .offset:         16
        .size:           4
        .value_kind:     by_value
      - .offset:         24
        .size:           4
        .value_kind:     hidden_block_count_x
      - .offset:         28
        .size:           4
        .value_kind:     hidden_block_count_y
      - .offset:         32
        .size:           4
        .value_kind:     hidden_block_count_z
      - .offset:         36
        .size:           2
        .value_kind:     hidden_group_size_x
      - .offset:         38
        .size:           2
        .value_kind:     hidden_group_size_y
      - .offset:         40
        .size:           2
        .value_kind:     hidden_group_size_z
      - .offset:         42
        .size:           2
        .value_kind:     hidden_remainder_x
      - .offset:         44
        .size:           2
        .value_kind:     hidden_remainder_y
      - .offset:         46
        .size:           2
        .value_kind:     hidden_remainder_z
      - .offset:         64
        .size:           8
        .value_kind:     hidden_global_offset_x
      - .offset:         72
        .size:           8
        .value_kind:     hidden_global_offset_y
      - .offset:         80
        .size:           8
        .value_kind:     hidden_global_offset_z
      - .offset:         88
        .size:           2
        .value_kind:     hidden_grid_dims
      - .offset:         104
        .size:           8
        .value_kind:     hidden_hostcall_buffer
    .group_segment_fixed_size: 0
    .kernarg_segment_align: 8
    .kernarg_segment_size: 280
    .language:       OpenCL C
    .language_version:
      - 2
      - 0
    .max_flat_workgroup_size: 1024
    .name:           _ZN4vllm17activation_kernelIfTnPFT_RKS1_EXadL_ZNS_16gelu_fast_kernelIfEES1_S3_EELb1ELb1EEEvPS1_PS2_i
    .private_segment_fixed_size: 64
    .sgpr_count:     36
    .sgpr_spill_count: 0
    .symbol:         _ZN4vllm17activation_kernelIfTnPFT_RKS1_EXadL_ZNS_16gelu_fast_kernelIfEES1_S3_EELb1ELb1EEEvPS1_PS2_i.kd
    .uniform_work_group_size: 1
    .uses_dynamic_stack: false
    .vgpr_count:     51
    .vgpr_spill_count: 0
    .wavefront_size: 32
    .workgroup_processor_mode: 1
  - .args:
      - .actual_access:  read_only
        .address_space:  global
        .offset:         0
        .size:           8
        .value_kind:     global_buffer
      - .actual_access:  read_only
        .address_space:  global
        .offset:         8
        .size:           8
        .value_kind:     global_buffer
      - .offset:         16
        .size:           4
        .value_kind:     by_value
      - .offset:         24
        .size:           4
        .value_kind:     hidden_block_count_x
      - .offset:         28
        .size:           4
        .value_kind:     hidden_block_count_y
      - .offset:         32
        .size:           4
        .value_kind:     hidden_block_count_z
      - .offset:         36
        .size:           2
        .value_kind:     hidden_group_size_x
      - .offset:         38
        .size:           2
        .value_kind:     hidden_group_size_y
      - .offset:         40
        .size:           2
        .value_kind:     hidden_group_size_z
      - .offset:         42
        .size:           2
        .value_kind:     hidden_remainder_x
      - .offset:         44
        .size:           2
        .value_kind:     hidden_remainder_y
      - .offset:         46
        .size:           2
        .value_kind:     hidden_remainder_z
      - .offset:         64
        .size:           8
        .value_kind:     hidden_global_offset_x
      - .offset:         72
        .size:           8
        .value_kind:     hidden_global_offset_y
      - .offset:         80
        .size:           8
        .value_kind:     hidden_global_offset_z
      - .offset:         88
        .size:           2
        .value_kind:     hidden_grid_dims
      - .offset:         104
        .size:           8
        .value_kind:     hidden_hostcall_buffer
    .group_segment_fixed_size: 0
    .kernarg_segment_align: 8
    .kernarg_segment_size: 280
    .language:       OpenCL C
    .language_version:
      - 2
      - 0
    .max_flat_workgroup_size: 1024
    .name:           _ZN4vllm17activation_kernelIN3c104HalfETnPFT_RKS3_EXadL_ZNS_16gelu_fast_kernelIS2_EES3_S5_EELb1ELb1EEEvPS3_PS4_i
    .private_segment_fixed_size: 64
    .sgpr_count:     36
    .sgpr_spill_count: 0
    .symbol:         _ZN4vllm17activation_kernelIN3c104HalfETnPFT_RKS3_EXadL_ZNS_16gelu_fast_kernelIS2_EES3_S5_EELb1ELb1EEEvPS3_PS4_i.kd
    .uniform_work_group_size: 1
    .uses_dynamic_stack: false
    .vgpr_count:     51
    .vgpr_spill_count: 0
    .wavefront_size: 32
    .workgroup_processor_mode: 1
  - .args:
      - .actual_access:  read_only
        .address_space:  global
        .offset:         0
        .size:           8
        .value_kind:     global_buffer
      - .actual_access:  read_only
        .address_space:  global
        .offset:         8
        .size:           8
        .value_kind:     global_buffer
      - .offset:         16
        .size:           4
        .value_kind:     by_value
      - .offset:         24
        .size:           4
        .value_kind:     hidden_block_count_x
      - .offset:         28
        .size:           4
        .value_kind:     hidden_block_count_y
      - .offset:         32
        .size:           4
        .value_kind:     hidden_block_count_z
      - .offset:         36
        .size:           2
        .value_kind:     hidden_group_size_x
      - .offset:         38
        .size:           2
        .value_kind:     hidden_group_size_y
      - .offset:         40
        .size:           2
        .value_kind:     hidden_group_size_z
      - .offset:         42
        .size:           2
        .value_kind:     hidden_remainder_x
      - .offset:         44
        .size:           2
        .value_kind:     hidden_remainder_y
      - .offset:         46
        .size:           2
        .value_kind:     hidden_remainder_z
      - .offset:         64
        .size:           8
        .value_kind:     hidden_global_offset_x
      - .offset:         72
        .size:           8
        .value_kind:     hidden_global_offset_y
      - .offset:         80
        .size:           8
        .value_kind:     hidden_global_offset_z
      - .offset:         88
        .size:           2
        .value_kind:     hidden_grid_dims
      - .offset:         104
        .size:           8
        .value_kind:     hidden_hostcall_buffer
    .group_segment_fixed_size: 0
    .kernarg_segment_align: 8
    .kernarg_segment_size: 280
    .language:       OpenCL C
    .language_version:
      - 2
      - 0
    .max_flat_workgroup_size: 1024
    .name:           _ZN4vllm17activation_kernelIN3c108BFloat16ETnPFT_RKS3_EXadL_ZNS_16gelu_fast_kernelIS2_EES3_S5_EELb1ELb1EEEvPS3_PS4_i
    .private_segment_fixed_size: 64
    .sgpr_count:     36
    .sgpr_spill_count: 0
    .symbol:         _ZN4vllm17activation_kernelIN3c108BFloat16ETnPFT_RKS3_EXadL_ZNS_16gelu_fast_kernelIS2_EES3_S5_EELb1ELb1EEEvPS3_PS4_i.kd
    .uniform_work_group_size: 1
    .uses_dynamic_stack: false
    .vgpr_count:     51
    .vgpr_spill_count: 0
    .wavefront_size: 32
    .workgroup_processor_mode: 1
  - .args:
      - .actual_access:  write_only
        .address_space:  global
        .offset:         0
        .size:           8
        .value_kind:     global_buffer
      - .actual_access:  read_only
        .address_space:  global
        .offset:         8
        .size:           8
        .value_kind:     global_buffer
      - .offset:         16
        .size:           4
        .value_kind:     by_value
      - .offset:         24
        .size:           4
        .value_kind:     hidden_block_count_x
      - .offset:         28
        .size:           4
        .value_kind:     hidden_block_count_y
      - .offset:         32
        .size:           4
        .value_kind:     hidden_block_count_z
      - .offset:         36
        .size:           2
        .value_kind:     hidden_group_size_x
      - .offset:         38
        .size:           2
        .value_kind:     hidden_group_size_y
      - .offset:         40
        .size:           2
        .value_kind:     hidden_group_size_z
      - .offset:         42
        .size:           2
        .value_kind:     hidden_remainder_x
      - .offset:         44
        .size:           2
        .value_kind:     hidden_remainder_y
      - .offset:         46
        .size:           2
        .value_kind:     hidden_remainder_z
      - .offset:         64
        .size:           8
        .value_kind:     hidden_global_offset_x
      - .offset:         72
        .size:           8
        .value_kind:     hidden_global_offset_y
      - .offset:         80
        .size:           8
        .value_kind:     hidden_global_offset_z
      - .offset:         88
        .size:           2
        .value_kind:     hidden_grid_dims
    .group_segment_fixed_size: 0
    .kernarg_segment_align: 8
    .kernarg_segment_size: 280
    .language:       OpenCL C
    .language_version:
      - 2
      - 0
    .max_flat_workgroup_size: 1024
    .name:           _ZN4vllm17activation_kernelIfTnPFT_RKS1_EXadL_ZNS_16gelu_fast_kernelIfEES1_S3_EELb1ELb0EEEvPS1_PS2_i
    .private_segment_fixed_size: 0
    .sgpr_count:     18
    .sgpr_spill_count: 0
    .symbol:         _ZN4vllm17activation_kernelIfTnPFT_RKS1_EXadL_ZNS_16gelu_fast_kernelIfEES1_S3_EELb1ELb0EEEvPS1_PS2_i.kd
    .uniform_work_group_size: 1
    .uses_dynamic_stack: false
    .vgpr_count:     18
    .vgpr_spill_count: 0
    .wavefront_size: 32
    .workgroup_processor_mode: 1
  - .args:
      - .actual_access:  write_only
        .address_space:  global
        .offset:         0
        .size:           8
        .value_kind:     global_buffer
      - .actual_access:  read_only
        .address_space:  global
        .offset:         8
        .size:           8
        .value_kind:     global_buffer
      - .offset:         16
        .size:           4
        .value_kind:     by_value
      - .offset:         24
        .size:           4
        .value_kind:     hidden_block_count_x
      - .offset:         28
        .size:           4
        .value_kind:     hidden_block_count_y
      - .offset:         32
        .size:           4
        .value_kind:     hidden_block_count_z
      - .offset:         36
        .size:           2
        .value_kind:     hidden_group_size_x
      - .offset:         38
        .size:           2
        .value_kind:     hidden_group_size_y
      - .offset:         40
        .size:           2
        .value_kind:     hidden_group_size_z
      - .offset:         42
        .size:           2
        .value_kind:     hidden_remainder_x
      - .offset:         44
        .size:           2
        .value_kind:     hidden_remainder_y
      - .offset:         46
        .size:           2
        .value_kind:     hidden_remainder_z
      - .offset:         64
        .size:           8
        .value_kind:     hidden_global_offset_x
      - .offset:         72
        .size:           8
        .value_kind:     hidden_global_offset_y
      - .offset:         80
        .size:           8
        .value_kind:     hidden_global_offset_z
      - .offset:         88
        .size:           2
        .value_kind:     hidden_grid_dims
    .group_segment_fixed_size: 0
    .kernarg_segment_align: 8
    .kernarg_segment_size: 280
    .language:       OpenCL C
    .language_version:
      - 2
      - 0
    .max_flat_workgroup_size: 1024
    .name:           _ZN4vllm17activation_kernelIN3c104HalfETnPFT_RKS3_EXadL_ZNS_16gelu_fast_kernelIS2_EES3_S5_EELb1ELb0EEEvPS3_PS4_i
    .private_segment_fixed_size: 0
    .sgpr_count:     18
    .sgpr_spill_count: 0
    .symbol:         _ZN4vllm17activation_kernelIN3c104HalfETnPFT_RKS3_EXadL_ZNS_16gelu_fast_kernelIS2_EES3_S5_EELb1ELb0EEEvPS3_PS4_i.kd
    .uniform_work_group_size: 1
    .uses_dynamic_stack: false
    .vgpr_count:     32
    .vgpr_spill_count: 0
    .wavefront_size: 32
    .workgroup_processor_mode: 1
  - .args:
      - .actual_access:  write_only
        .address_space:  global
        .offset:         0
        .size:           8
        .value_kind:     global_buffer
      - .actual_access:  read_only
        .address_space:  global
        .offset:         8
        .size:           8
        .value_kind:     global_buffer
      - .offset:         16
        .size:           4
        .value_kind:     by_value
      - .offset:         24
        .size:           4
        .value_kind:     hidden_block_count_x
      - .offset:         28
        .size:           4
        .value_kind:     hidden_block_count_y
      - .offset:         32
        .size:           4
        .value_kind:     hidden_block_count_z
      - .offset:         36
        .size:           2
        .value_kind:     hidden_group_size_x
      - .offset:         38
        .size:           2
        .value_kind:     hidden_group_size_y
      - .offset:         40
        .size:           2
        .value_kind:     hidden_group_size_z
      - .offset:         42
        .size:           2
        .value_kind:     hidden_remainder_x
      - .offset:         44
        .size:           2
        .value_kind:     hidden_remainder_y
      - .offset:         46
        .size:           2
        .value_kind:     hidden_remainder_z
      - .offset:         64
        .size:           8
        .value_kind:     hidden_global_offset_x
      - .offset:         72
        .size:           8
        .value_kind:     hidden_global_offset_y
      - .offset:         80
        .size:           8
        .value_kind:     hidden_global_offset_z
      - .offset:         88
        .size:           2
        .value_kind:     hidden_grid_dims
    .group_segment_fixed_size: 0
    .kernarg_segment_align: 8
    .kernarg_segment_size: 280
    .language:       OpenCL C
    .language_version:
      - 2
      - 0
    .max_flat_workgroup_size: 1024
    .name:           _ZN4vllm17activation_kernelIN3c108BFloat16ETnPFT_RKS3_EXadL_ZNS_16gelu_fast_kernelIS2_EES3_S5_EELb1ELb0EEEvPS3_PS4_i
    .private_segment_fixed_size: 0
    .sgpr_count:     18
    .sgpr_spill_count: 0
    .symbol:         _ZN4vllm17activation_kernelIN3c108BFloat16ETnPFT_RKS3_EXadL_ZNS_16gelu_fast_kernelIS2_EES3_S5_EELb1ELb0EEEvPS3_PS4_i.kd
    .uniform_work_group_size: 1
    .uses_dynamic_stack: false
    .vgpr_count:     32
    .vgpr_spill_count: 0
    .wavefront_size: 32
    .workgroup_processor_mode: 1
  - .args:
      - .actual_access:  write_only
        .address_space:  global
        .offset:         0
        .size:           8
        .value_kind:     global_buffer
      - .actual_access:  read_only
        .address_space:  global
        .offset:         8
        .size:           8
        .value_kind:     global_buffer
      - .offset:         16
        .size:           4
        .value_kind:     by_value
      - .offset:         24
        .size:           4
        .value_kind:     hidden_block_count_x
      - .offset:         28
        .size:           4
        .value_kind:     hidden_block_count_y
      - .offset:         32
        .size:           4
        .value_kind:     hidden_block_count_z
      - .offset:         36
        .size:           2
        .value_kind:     hidden_group_size_x
      - .offset:         38
        .size:           2
        .value_kind:     hidden_group_size_y
      - .offset:         40
        .size:           2
        .value_kind:     hidden_group_size_z
      - .offset:         42
        .size:           2
        .value_kind:     hidden_remainder_x
      - .offset:         44
        .size:           2
        .value_kind:     hidden_remainder_y
      - .offset:         46
        .size:           2
        .value_kind:     hidden_remainder_z
      - .offset:         64
        .size:           8
        .value_kind:     hidden_global_offset_x
      - .offset:         72
        .size:           8
        .value_kind:     hidden_global_offset_y
      - .offset:         80
        .size:           8
        .value_kind:     hidden_global_offset_z
      - .offset:         88
        .size:           2
        .value_kind:     hidden_grid_dims
    .group_segment_fixed_size: 0
    .kernarg_segment_align: 8
    .kernarg_segment_size: 280
    .language:       OpenCL C
    .language_version:
      - 2
      - 0
    .max_flat_workgroup_size: 1024
    .name:           _ZN4vllm17activation_kernelIfTnPFT_RKS1_EXadL_ZNS_16gelu_fast_kernelIfEES1_S3_EELb0ELb0EEEvPS1_PS2_i
    .private_segment_fixed_size: 0
    .sgpr_count:     18
    .sgpr_spill_count: 0
    .symbol:         _ZN4vllm17activation_kernelIfTnPFT_RKS1_EXadL_ZNS_16gelu_fast_kernelIfEES1_S3_EELb0ELb0EEEvPS1_PS2_i.kd
    .uniform_work_group_size: 1
    .uses_dynamic_stack: false
    .vgpr_count:     10
    .vgpr_spill_count: 0
    .wavefront_size: 32
    .workgroup_processor_mode: 1
  - .args:
      - .actual_access:  write_only
        .address_space:  global
        .offset:         0
        .size:           8
        .value_kind:     global_buffer
      - .actual_access:  read_only
        .address_space:  global
        .offset:         8
        .size:           8
        .value_kind:     global_buffer
      - .offset:         16
        .size:           4
        .value_kind:     by_value
      - .offset:         24
        .size:           4
        .value_kind:     hidden_block_count_x
      - .offset:         28
        .size:           4
        .value_kind:     hidden_block_count_y
      - .offset:         32
        .size:           4
        .value_kind:     hidden_block_count_z
      - .offset:         36
        .size:           2
        .value_kind:     hidden_group_size_x
      - .offset:         38
        .size:           2
        .value_kind:     hidden_group_size_y
      - .offset:         40
        .size:           2
        .value_kind:     hidden_group_size_z
      - .offset:         42
        .size:           2
        .value_kind:     hidden_remainder_x
      - .offset:         44
        .size:           2
        .value_kind:     hidden_remainder_y
      - .offset:         46
        .size:           2
        .value_kind:     hidden_remainder_z
      - .offset:         64
        .size:           8
        .value_kind:     hidden_global_offset_x
      - .offset:         72
        .size:           8
        .value_kind:     hidden_global_offset_y
      - .offset:         80
        .size:           8
        .value_kind:     hidden_global_offset_z
      - .offset:         88
        .size:           2
        .value_kind:     hidden_grid_dims
    .group_segment_fixed_size: 0
    .kernarg_segment_align: 8
    .kernarg_segment_size: 280
    .language:       OpenCL C
    .language_version:
      - 2
      - 0
    .max_flat_workgroup_size: 1024
    .name:           _ZN4vllm17activation_kernelIN3c104HalfETnPFT_RKS3_EXadL_ZNS_16gelu_fast_kernelIS2_EES3_S5_EELb0ELb0EEEvPS3_PS4_i
    .private_segment_fixed_size: 0
    .sgpr_count:     18
    .sgpr_spill_count: 0
    .symbol:         _ZN4vllm17activation_kernelIN3c104HalfETnPFT_RKS3_EXadL_ZNS_16gelu_fast_kernelIS2_EES3_S5_EELb0ELb0EEEvPS3_PS4_i.kd
    .uniform_work_group_size: 1
    .uses_dynamic_stack: false
    .vgpr_count:     10
    .vgpr_spill_count: 0
    .wavefront_size: 32
    .workgroup_processor_mode: 1
  - .args:
      - .actual_access:  write_only
        .address_space:  global
        .offset:         0
        .size:           8
        .value_kind:     global_buffer
      - .actual_access:  read_only
        .address_space:  global
        .offset:         8
        .size:           8
        .value_kind:     global_buffer
      - .offset:         16
        .size:           4
        .value_kind:     by_value
      - .offset:         24
        .size:           4
        .value_kind:     hidden_block_count_x
      - .offset:         28
        .size:           4
        .value_kind:     hidden_block_count_y
      - .offset:         32
        .size:           4
        .value_kind:     hidden_block_count_z
      - .offset:         36
        .size:           2
        .value_kind:     hidden_group_size_x
      - .offset:         38
        .size:           2
        .value_kind:     hidden_group_size_y
      - .offset:         40
        .size:           2
        .value_kind:     hidden_group_size_z
      - .offset:         42
        .size:           2
        .value_kind:     hidden_remainder_x
      - .offset:         44
        .size:           2
        .value_kind:     hidden_remainder_y
      - .offset:         46
        .size:           2
        .value_kind:     hidden_remainder_z
      - .offset:         64
        .size:           8
        .value_kind:     hidden_global_offset_x
      - .offset:         72
        .size:           8
        .value_kind:     hidden_global_offset_y
      - .offset:         80
        .size:           8
        .value_kind:     hidden_global_offset_z
      - .offset:         88
        .size:           2
        .value_kind:     hidden_grid_dims
    .group_segment_fixed_size: 0
    .kernarg_segment_align: 8
    .kernarg_segment_size: 280
    .language:       OpenCL C
    .language_version:
      - 2
      - 0
    .max_flat_workgroup_size: 1024
    .name:           _ZN4vllm17activation_kernelIN3c108BFloat16ETnPFT_RKS3_EXadL_ZNS_16gelu_fast_kernelIS2_EES3_S5_EELb0ELb0EEEvPS3_PS4_i
    .private_segment_fixed_size: 0
    .sgpr_count:     18
    .sgpr_spill_count: 0
    .symbol:         _ZN4vllm17activation_kernelIN3c108BFloat16ETnPFT_RKS3_EXadL_ZNS_16gelu_fast_kernelIS2_EES3_S5_EELb0ELb0EEEvPS3_PS4_i.kd
    .uniform_work_group_size: 1
    .uses_dynamic_stack: false
    .vgpr_count:     10
    .vgpr_spill_count: 0
    .wavefront_size: 32
    .workgroup_processor_mode: 1
  - .args:
      - .actual_access:  read_only
        .address_space:  global
        .offset:         0
        .size:           8
        .value_kind:     global_buffer
      - .actual_access:  read_only
        .address_space:  global
        .offset:         8
        .size:           8
        .value_kind:     global_buffer
      - .offset:         16
        .size:           4
        .value_kind:     by_value
      - .offset:         24
        .size:           4
        .value_kind:     hidden_block_count_x
      - .offset:         28
        .size:           4
        .value_kind:     hidden_block_count_y
      - .offset:         32
        .size:           4
        .value_kind:     hidden_block_count_z
      - .offset:         36
        .size:           2
        .value_kind:     hidden_group_size_x
      - .offset:         38
        .size:           2
        .value_kind:     hidden_group_size_y
      - .offset:         40
        .size:           2
        .value_kind:     hidden_group_size_z
      - .offset:         42
        .size:           2
        .value_kind:     hidden_remainder_x
      - .offset:         44
        .size:           2
        .value_kind:     hidden_remainder_y
      - .offset:         46
        .size:           2
        .value_kind:     hidden_remainder_z
      - .offset:         64
        .size:           8
        .value_kind:     hidden_global_offset_x
      - .offset:         72
        .size:           8
        .value_kind:     hidden_global_offset_y
      - .offset:         80
        .size:           8
        .value_kind:     hidden_global_offset_z
      - .offset:         88
        .size:           2
        .value_kind:     hidden_grid_dims
      - .offset:         104
        .size:           8
        .value_kind:     hidden_hostcall_buffer
    .group_segment_fixed_size: 0
    .kernarg_segment_align: 8
    .kernarg_segment_size: 280
    .language:       OpenCL C
    .language_version:
      - 2
      - 0
    .max_flat_workgroup_size: 1024
    .name:           _ZN4vllm17activation_kernelIfTnPFT_RKS1_EXadL_ZNS_17gelu_quick_kernelIfEES1_S3_EELb1ELb1EEEvPS1_PS2_i
    .private_segment_fixed_size: 64
    .sgpr_count:     36
    .sgpr_spill_count: 0
    .symbol:         _ZN4vllm17activation_kernelIfTnPFT_RKS1_EXadL_ZNS_17gelu_quick_kernelIfEES1_S3_EELb1ELb1EEEvPS1_PS2_i.kd
    .uniform_work_group_size: 1
    .uses_dynamic_stack: false
    .vgpr_count:     51
    .vgpr_spill_count: 0
    .wavefront_size: 32
    .workgroup_processor_mode: 1
  - .args:
      - .actual_access:  read_only
        .address_space:  global
        .offset:         0
        .size:           8
        .value_kind:     global_buffer
      - .actual_access:  read_only
        .address_space:  global
        .offset:         8
        .size:           8
        .value_kind:     global_buffer
      - .offset:         16
        .size:           4
        .value_kind:     by_value
      - .offset:         24
        .size:           4
        .value_kind:     hidden_block_count_x
      - .offset:         28
        .size:           4
        .value_kind:     hidden_block_count_y
      - .offset:         32
        .size:           4
        .value_kind:     hidden_block_count_z
      - .offset:         36
        .size:           2
        .value_kind:     hidden_group_size_x
      - .offset:         38
        .size:           2
        .value_kind:     hidden_group_size_y
      - .offset:         40
        .size:           2
        .value_kind:     hidden_group_size_z
      - .offset:         42
        .size:           2
        .value_kind:     hidden_remainder_x
      - .offset:         44
        .size:           2
        .value_kind:     hidden_remainder_y
      - .offset:         46
        .size:           2
        .value_kind:     hidden_remainder_z
      - .offset:         64
        .size:           8
        .value_kind:     hidden_global_offset_x
      - .offset:         72
        .size:           8
        .value_kind:     hidden_global_offset_y
      - .offset:         80
        .size:           8
        .value_kind:     hidden_global_offset_z
      - .offset:         88
        .size:           2
        .value_kind:     hidden_grid_dims
      - .offset:         104
        .size:           8
        .value_kind:     hidden_hostcall_buffer
    .group_segment_fixed_size: 0
    .kernarg_segment_align: 8
    .kernarg_segment_size: 280
    .language:       OpenCL C
    .language_version:
      - 2
      - 0
    .max_flat_workgroup_size: 1024
    .name:           _ZN4vllm17activation_kernelIN3c104HalfETnPFT_RKS3_EXadL_ZNS_17gelu_quick_kernelIS2_EES3_S5_EELb1ELb1EEEvPS3_PS4_i
    .private_segment_fixed_size: 64
    .sgpr_count:     36
    .sgpr_spill_count: 0
    .symbol:         _ZN4vllm17activation_kernelIN3c104HalfETnPFT_RKS3_EXadL_ZNS_17gelu_quick_kernelIS2_EES3_S5_EELb1ELb1EEEvPS3_PS4_i.kd
    .uniform_work_group_size: 1
    .uses_dynamic_stack: false
    .vgpr_count:     51
    .vgpr_spill_count: 0
    .wavefront_size: 32
    .workgroup_processor_mode: 1
  - .args:
      - .actual_access:  read_only
        .address_space:  global
        .offset:         0
        .size:           8
        .value_kind:     global_buffer
      - .actual_access:  read_only
        .address_space:  global
        .offset:         8
        .size:           8
        .value_kind:     global_buffer
      - .offset:         16
        .size:           4
        .value_kind:     by_value
      - .offset:         24
        .size:           4
        .value_kind:     hidden_block_count_x
      - .offset:         28
        .size:           4
        .value_kind:     hidden_block_count_y
      - .offset:         32
        .size:           4
        .value_kind:     hidden_block_count_z
      - .offset:         36
        .size:           2
        .value_kind:     hidden_group_size_x
      - .offset:         38
        .size:           2
        .value_kind:     hidden_group_size_y
      - .offset:         40
        .size:           2
        .value_kind:     hidden_group_size_z
      - .offset:         42
        .size:           2
        .value_kind:     hidden_remainder_x
      - .offset:         44
        .size:           2
        .value_kind:     hidden_remainder_y
      - .offset:         46
        .size:           2
        .value_kind:     hidden_remainder_z
      - .offset:         64
        .size:           8
        .value_kind:     hidden_global_offset_x
      - .offset:         72
        .size:           8
        .value_kind:     hidden_global_offset_y
      - .offset:         80
        .size:           8
        .value_kind:     hidden_global_offset_z
      - .offset:         88
        .size:           2
        .value_kind:     hidden_grid_dims
      - .offset:         104
        .size:           8
        .value_kind:     hidden_hostcall_buffer
    .group_segment_fixed_size: 0
    .kernarg_segment_align: 8
    .kernarg_segment_size: 280
    .language:       OpenCL C
    .language_version:
      - 2
      - 0
    .max_flat_workgroup_size: 1024
    .name:           _ZN4vllm17activation_kernelIN3c108BFloat16ETnPFT_RKS3_EXadL_ZNS_17gelu_quick_kernelIS2_EES3_S5_EELb1ELb1EEEvPS3_PS4_i
    .private_segment_fixed_size: 64
    .sgpr_count:     36
    .sgpr_spill_count: 0
    .symbol:         _ZN4vllm17activation_kernelIN3c108BFloat16ETnPFT_RKS3_EXadL_ZNS_17gelu_quick_kernelIS2_EES3_S5_EELb1ELb1EEEvPS3_PS4_i.kd
    .uniform_work_group_size: 1
    .uses_dynamic_stack: false
    .vgpr_count:     51
    .vgpr_spill_count: 0
    .wavefront_size: 32
    .workgroup_processor_mode: 1
  - .args:
      - .actual_access:  write_only
        .address_space:  global
        .offset:         0
        .size:           8
        .value_kind:     global_buffer
      - .actual_access:  read_only
        .address_space:  global
        .offset:         8
        .size:           8
        .value_kind:     global_buffer
      - .offset:         16
        .size:           4
        .value_kind:     by_value
      - .offset:         24
        .size:           4
        .value_kind:     hidden_block_count_x
      - .offset:         28
        .size:           4
        .value_kind:     hidden_block_count_y
      - .offset:         32
        .size:           4
        .value_kind:     hidden_block_count_z
      - .offset:         36
        .size:           2
        .value_kind:     hidden_group_size_x
      - .offset:         38
        .size:           2
        .value_kind:     hidden_group_size_y
      - .offset:         40
        .size:           2
        .value_kind:     hidden_group_size_z
      - .offset:         42
        .size:           2
        .value_kind:     hidden_remainder_x
      - .offset:         44
        .size:           2
        .value_kind:     hidden_remainder_y
      - .offset:         46
        .size:           2
        .value_kind:     hidden_remainder_z
      - .offset:         64
        .size:           8
        .value_kind:     hidden_global_offset_x
      - .offset:         72
        .size:           8
        .value_kind:     hidden_global_offset_y
      - .offset:         80
        .size:           8
        .value_kind:     hidden_global_offset_z
      - .offset:         88
        .size:           2
        .value_kind:     hidden_grid_dims
    .group_segment_fixed_size: 0
    .kernarg_segment_align: 8
    .kernarg_segment_size: 280
    .language:       OpenCL C
    .language_version:
      - 2
      - 0
    .max_flat_workgroup_size: 1024
    .name:           _ZN4vllm17activation_kernelIfTnPFT_RKS1_EXadL_ZNS_17gelu_quick_kernelIfEES1_S3_EELb1ELb0EEEvPS1_PS2_i
    .private_segment_fixed_size: 0
    .sgpr_count:     18
    .sgpr_spill_count: 0
    .symbol:         _ZN4vllm17activation_kernelIfTnPFT_RKS1_EXadL_ZNS_17gelu_quick_kernelIfEES1_S3_EELb1ELb0EEEvPS1_PS2_i.kd
    .uniform_work_group_size: 1
    .uses_dynamic_stack: false
    .vgpr_count:     33
    .vgpr_spill_count: 0
    .wavefront_size: 32
    .workgroup_processor_mode: 1
  - .args:
      - .actual_access:  write_only
        .address_space:  global
        .offset:         0
        .size:           8
        .value_kind:     global_buffer
      - .actual_access:  read_only
        .address_space:  global
        .offset:         8
        .size:           8
        .value_kind:     global_buffer
      - .offset:         16
        .size:           4
        .value_kind:     by_value
      - .offset:         24
        .size:           4
        .value_kind:     hidden_block_count_x
      - .offset:         28
        .size:           4
        .value_kind:     hidden_block_count_y
      - .offset:         32
        .size:           4
        .value_kind:     hidden_block_count_z
      - .offset:         36
        .size:           2
        .value_kind:     hidden_group_size_x
      - .offset:         38
        .size:           2
        .value_kind:     hidden_group_size_y
      - .offset:         40
        .size:           2
        .value_kind:     hidden_group_size_z
      - .offset:         42
        .size:           2
        .value_kind:     hidden_remainder_x
      - .offset:         44
        .size:           2
        .value_kind:     hidden_remainder_y
      - .offset:         46
        .size:           2
        .value_kind:     hidden_remainder_z
      - .offset:         64
        .size:           8
        .value_kind:     hidden_global_offset_x
      - .offset:         72
        .size:           8
        .value_kind:     hidden_global_offset_y
      - .offset:         80
        .size:           8
        .value_kind:     hidden_global_offset_z
      - .offset:         88
        .size:           2
        .value_kind:     hidden_grid_dims
    .group_segment_fixed_size: 0
    .kernarg_segment_align: 8
    .kernarg_segment_size: 280
    .language:       OpenCL C
    .language_version:
      - 2
      - 0
    .max_flat_workgroup_size: 1024
    .name:           _ZN4vllm17activation_kernelIN3c104HalfETnPFT_RKS3_EXadL_ZNS_17gelu_quick_kernelIS2_EES3_S5_EELb1ELb0EEEvPS3_PS4_i
    .private_segment_fixed_size: 0
    .sgpr_count:     18
    .sgpr_spill_count: 0
    .symbol:         _ZN4vllm17activation_kernelIN3c104HalfETnPFT_RKS3_EXadL_ZNS_17gelu_quick_kernelIS2_EES3_S5_EELb1ELb0EEEvPS3_PS4_i.kd
    .uniform_work_group_size: 1
    .uses_dynamic_stack: false
    .vgpr_count:     59
    .vgpr_spill_count: 0
    .wavefront_size: 32
    .workgroup_processor_mode: 1
  - .args:
      - .actual_access:  write_only
        .address_space:  global
        .offset:         0
        .size:           8
        .value_kind:     global_buffer
      - .actual_access:  read_only
        .address_space:  global
        .offset:         8
        .size:           8
        .value_kind:     global_buffer
      - .offset:         16
        .size:           4
        .value_kind:     by_value
      - .offset:         24
        .size:           4
        .value_kind:     hidden_block_count_x
      - .offset:         28
        .size:           4
        .value_kind:     hidden_block_count_y
      - .offset:         32
        .size:           4
        .value_kind:     hidden_block_count_z
      - .offset:         36
        .size:           2
        .value_kind:     hidden_group_size_x
      - .offset:         38
        .size:           2
        .value_kind:     hidden_group_size_y
      - .offset:         40
        .size:           2
        .value_kind:     hidden_group_size_z
      - .offset:         42
        .size:           2
        .value_kind:     hidden_remainder_x
      - .offset:         44
        .size:           2
        .value_kind:     hidden_remainder_y
      - .offset:         46
        .size:           2
        .value_kind:     hidden_remainder_z
      - .offset:         64
        .size:           8
        .value_kind:     hidden_global_offset_x
      - .offset:         72
        .size:           8
        .value_kind:     hidden_global_offset_y
      - .offset:         80
        .size:           8
        .value_kind:     hidden_global_offset_z
      - .offset:         88
        .size:           2
        .value_kind:     hidden_grid_dims
    .group_segment_fixed_size: 0
    .kernarg_segment_align: 8
    .kernarg_segment_size: 280
    .language:       OpenCL C
    .language_version:
      - 2
      - 0
    .max_flat_workgroup_size: 1024
    .name:           _ZN4vllm17activation_kernelIN3c108BFloat16ETnPFT_RKS3_EXadL_ZNS_17gelu_quick_kernelIS2_EES3_S5_EELb1ELb0EEEvPS3_PS4_i
    .private_segment_fixed_size: 0
    .sgpr_count:     22
    .sgpr_spill_count: 0
    .symbol:         _ZN4vllm17activation_kernelIN3c108BFloat16ETnPFT_RKS3_EXadL_ZNS_17gelu_quick_kernelIS2_EES3_S5_EELb1ELb0EEEvPS3_PS4_i.kd
    .uniform_work_group_size: 1
    .uses_dynamic_stack: false
    .vgpr_count:     61
    .vgpr_spill_count: 0
    .wavefront_size: 32
    .workgroup_processor_mode: 1
  - .args:
      - .actual_access:  write_only
        .address_space:  global
        .offset:         0
        .size:           8
        .value_kind:     global_buffer
      - .actual_access:  read_only
        .address_space:  global
        .offset:         8
        .size:           8
        .value_kind:     global_buffer
      - .offset:         16
        .size:           4
        .value_kind:     by_value
      - .offset:         24
        .size:           4
        .value_kind:     hidden_block_count_x
      - .offset:         28
        .size:           4
        .value_kind:     hidden_block_count_y
      - .offset:         32
        .size:           4
        .value_kind:     hidden_block_count_z
      - .offset:         36
        .size:           2
        .value_kind:     hidden_group_size_x
      - .offset:         38
        .size:           2
        .value_kind:     hidden_group_size_y
      - .offset:         40
        .size:           2
        .value_kind:     hidden_group_size_z
      - .offset:         42
        .size:           2
        .value_kind:     hidden_remainder_x
      - .offset:         44
        .size:           2
        .value_kind:     hidden_remainder_y
      - .offset:         46
        .size:           2
        .value_kind:     hidden_remainder_z
      - .offset:         64
        .size:           8
        .value_kind:     hidden_global_offset_x
      - .offset:         72
        .size:           8
        .value_kind:     hidden_global_offset_y
      - .offset:         80
        .size:           8
        .value_kind:     hidden_global_offset_z
      - .offset:         88
        .size:           2
        .value_kind:     hidden_grid_dims
    .group_segment_fixed_size: 0
    .kernarg_segment_align: 8
    .kernarg_segment_size: 280
    .language:       OpenCL C
    .language_version:
      - 2
      - 0
    .max_flat_workgroup_size: 1024
    .name:           _ZN4vllm17activation_kernelIfTnPFT_RKS1_EXadL_ZNS_17gelu_quick_kernelIfEES1_S3_EELb0ELb0EEEvPS1_PS2_i
    .private_segment_fixed_size: 0
    .sgpr_count:     18
    .sgpr_spill_count: 0
    .symbol:         _ZN4vllm17activation_kernelIfTnPFT_RKS1_EXadL_ZNS_17gelu_quick_kernelIfEES1_S3_EELb0ELb0EEEvPS1_PS2_i.kd
    .uniform_work_group_size: 1
    .uses_dynamic_stack: false
    .vgpr_count:     12
    .vgpr_spill_count: 0
    .wavefront_size: 32
    .workgroup_processor_mode: 1
  - .args:
      - .actual_access:  write_only
        .address_space:  global
        .offset:         0
        .size:           8
        .value_kind:     global_buffer
      - .actual_access:  read_only
        .address_space:  global
        .offset:         8
        .size:           8
        .value_kind:     global_buffer
      - .offset:         16
        .size:           4
        .value_kind:     by_value
      - .offset:         24
        .size:           4
        .value_kind:     hidden_block_count_x
      - .offset:         28
        .size:           4
        .value_kind:     hidden_block_count_y
      - .offset:         32
        .size:           4
        .value_kind:     hidden_block_count_z
      - .offset:         36
        .size:           2
        .value_kind:     hidden_group_size_x
      - .offset:         38
        .size:           2
        .value_kind:     hidden_group_size_y
      - .offset:         40
        .size:           2
        .value_kind:     hidden_group_size_z
      - .offset:         42
        .size:           2
        .value_kind:     hidden_remainder_x
      - .offset:         44
        .size:           2
        .value_kind:     hidden_remainder_y
      - .offset:         46
        .size:           2
        .value_kind:     hidden_remainder_z
      - .offset:         64
        .size:           8
        .value_kind:     hidden_global_offset_x
      - .offset:         72
        .size:           8
        .value_kind:     hidden_global_offset_y
      - .offset:         80
        .size:           8
        .value_kind:     hidden_global_offset_z
      - .offset:         88
        .size:           2
        .value_kind:     hidden_grid_dims
    .group_segment_fixed_size: 0
    .kernarg_segment_align: 8
    .kernarg_segment_size: 280
    .language:       OpenCL C
    .language_version:
      - 2
      - 0
    .max_flat_workgroup_size: 1024
    .name:           _ZN4vllm17activation_kernelIN3c104HalfETnPFT_RKS3_EXadL_ZNS_17gelu_quick_kernelIS2_EES3_S5_EELb0ELb0EEEvPS3_PS4_i
    .private_segment_fixed_size: 0
    .sgpr_count:     18
    .sgpr_spill_count: 0
    .symbol:         _ZN4vllm17activation_kernelIN3c104HalfETnPFT_RKS3_EXadL_ZNS_17gelu_quick_kernelIS2_EES3_S5_EELb0ELb0EEEvPS3_PS4_i.kd
    .uniform_work_group_size: 1
    .uses_dynamic_stack: false
    .vgpr_count:     24
    .vgpr_spill_count: 0
    .wavefront_size: 32
    .workgroup_processor_mode: 1
  - .args:
      - .actual_access:  write_only
        .address_space:  global
        .offset:         0
        .size:           8
        .value_kind:     global_buffer
      - .actual_access:  read_only
        .address_space:  global
        .offset:         8
        .size:           8
        .value_kind:     global_buffer
      - .offset:         16
        .size:           4
        .value_kind:     by_value
      - .offset:         24
        .size:           4
        .value_kind:     hidden_block_count_x
      - .offset:         28
        .size:           4
        .value_kind:     hidden_block_count_y
      - .offset:         32
        .size:           4
        .value_kind:     hidden_block_count_z
      - .offset:         36
        .size:           2
        .value_kind:     hidden_group_size_x
      - .offset:         38
        .size:           2
        .value_kind:     hidden_group_size_y
      - .offset:         40
        .size:           2
        .value_kind:     hidden_group_size_z
      - .offset:         42
        .size:           2
        .value_kind:     hidden_remainder_x
      - .offset:         44
        .size:           2
        .value_kind:     hidden_remainder_y
      - .offset:         46
        .size:           2
        .value_kind:     hidden_remainder_z
      - .offset:         64
        .size:           8
        .value_kind:     hidden_global_offset_x
      - .offset:         72
        .size:           8
        .value_kind:     hidden_global_offset_y
      - .offset:         80
        .size:           8
        .value_kind:     hidden_global_offset_z
      - .offset:         88
        .size:           2
        .value_kind:     hidden_grid_dims
    .group_segment_fixed_size: 0
    .kernarg_segment_align: 8
    .kernarg_segment_size: 280
    .language:       OpenCL C
    .language_version:
      - 2
      - 0
    .max_flat_workgroup_size: 1024
    .name:           _ZN4vllm17activation_kernelIN3c108BFloat16ETnPFT_RKS3_EXadL_ZNS_17gelu_quick_kernelIS2_EES3_S5_EELb0ELb0EEEvPS3_PS4_i
    .private_segment_fixed_size: 0
    .sgpr_count:     18
    .sgpr_spill_count: 0
    .symbol:         _ZN4vllm17activation_kernelIN3c108BFloat16ETnPFT_RKS3_EXadL_ZNS_17gelu_quick_kernelIS2_EES3_S5_EELb0ELb0EEEvPS3_PS4_i.kd
    .uniform_work_group_size: 1
    .uses_dynamic_stack: false
    .vgpr_count:     24
    .vgpr_spill_count: 0
    .wavefront_size: 32
    .workgroup_processor_mode: 1
amdhsa.target:   amdgcn-amd-amdhsa--gfx1100
amdhsa.version:
  - 1
  - 2
...

	.end_amdgpu_metadata
